;; amdgpu-corpus repo=ROCm/rocFFT kind=compiled arch=gfx950 opt=O3
	.text
	.amdgcn_target "amdgcn-amd-amdhsa--gfx950"
	.amdhsa_code_object_version 6
	.protected	fft_rtc_fwd_len2401_factors_7_7_7_7_wgs_49_tpt_49_halfLds_sp_op_CI_CI_unitstride_sbrr_dirReg ; -- Begin function fft_rtc_fwd_len2401_factors_7_7_7_7_wgs_49_tpt_49_halfLds_sp_op_CI_CI_unitstride_sbrr_dirReg
	.globl	fft_rtc_fwd_len2401_factors_7_7_7_7_wgs_49_tpt_49_halfLds_sp_op_CI_CI_unitstride_sbrr_dirReg
	.p2align	8
	.type	fft_rtc_fwd_len2401_factors_7_7_7_7_wgs_49_tpt_49_halfLds_sp_op_CI_CI_unitstride_sbrr_dirReg,@function
fft_rtc_fwd_len2401_factors_7_7_7_7_wgs_49_tpt_49_halfLds_sp_op_CI_CI_unitstride_sbrr_dirReg: ; @fft_rtc_fwd_len2401_factors_7_7_7_7_wgs_49_tpt_49_halfLds_sp_op_CI_CI_unitstride_sbrr_dirReg
; %bb.0:
	s_load_dwordx4 s[8:11], s[0:1], 0x58
	s_load_dwordx4 s[4:7], s[0:1], 0x0
	;; [unrolled: 1-line block ×3, first 2 shown]
	v_mul_u32_u24_e32 v1, 0x53a, v0
	v_add_u32_sdwa v4, s2, v1 dst_sel:DWORD dst_unused:UNUSED_PAD src0_sel:DWORD src1_sel:WORD_1
	v_mov_b32_e32 v2, 0
	s_waitcnt lgkmcnt(0)
	v_cmp_lt_u64_e64 s[2:3], s[6:7], 2
	v_mov_b32_e32 v5, v2
	s_and_b64 vcc, exec, s[2:3]
	v_mov_b64_e32 v[82:83], 0
	s_cbranch_vccnz .LBB0_8
; %bb.1:
	s_load_dwordx2 s[2:3], s[0:1], 0x10
	s_add_u32 s16, s14, 8
	s_addc_u32 s17, s15, 0
	s_add_u32 s18, s12, 8
	s_addc_u32 s19, s13, 0
	s_waitcnt lgkmcnt(0)
	s_add_u32 s20, s2, 8
	v_mov_b64_e32 v[82:83], 0
	s_addc_u32 s21, s3, 0
	s_mov_b64 s[22:23], 1
	v_mov_b64_e32 v[20:21], v[82:83]
.LBB0_2:                                ; =>This Inner Loop Header: Depth=1
	s_load_dwordx2 s[24:25], s[20:21], 0x0
                                        ; implicit-def: $vgpr8_vgpr9
	s_waitcnt lgkmcnt(0)
	v_or_b32_e32 v3, s25, v5
	v_cmp_ne_u64_e32 vcc, 0, v[2:3]
	s_and_saveexec_b64 s[2:3], vcc
	s_xor_b64 s[26:27], exec, s[2:3]
	s_cbranch_execz .LBB0_4
; %bb.3:                                ;   in Loop: Header=BB0_2 Depth=1
	v_cvt_f32_u32_e32 v1, s24
	v_cvt_f32_u32_e32 v3, s25
	s_sub_u32 s2, 0, s24
	s_subb_u32 s3, 0, s25
	v_fmac_f32_e32 v1, 0x4f800000, v3
	v_rcp_f32_e32 v1, v1
	s_nop 0
	v_mul_f32_e32 v1, 0x5f7ffffc, v1
	v_mul_f32_e32 v3, 0x2f800000, v1
	v_trunc_f32_e32 v3, v3
	v_fmac_f32_e32 v1, 0xcf800000, v3
	v_cvt_u32_f32_e32 v3, v3
	v_cvt_u32_f32_e32 v1, v1
	v_mul_lo_u32 v6, s2, v3
	v_mul_hi_u32 v8, s2, v1
	v_mul_lo_u32 v7, s3, v1
	v_add_u32_e32 v8, v8, v6
	v_mul_lo_u32 v10, s2, v1
	v_add_u32_e32 v11, v8, v7
	v_mul_hi_u32 v6, v1, v10
	v_mul_hi_u32 v9, v1, v11
	v_mul_lo_u32 v8, v1, v11
	v_mov_b32_e32 v7, v2
	v_lshl_add_u64 v[6:7], v[6:7], 0, v[8:9]
	v_mul_hi_u32 v9, v3, v10
	v_mul_lo_u32 v10, v3, v10
	v_add_co_u32_e32 v6, vcc, v6, v10
	v_mul_hi_u32 v8, v3, v11
	s_nop 0
	v_addc_co_u32_e32 v6, vcc, v7, v9, vcc
	v_mov_b32_e32 v7, v2
	s_nop 0
	v_addc_co_u32_e32 v9, vcc, 0, v8, vcc
	v_mul_lo_u32 v8, v3, v11
	v_lshl_add_u64 v[6:7], v[6:7], 0, v[8:9]
	v_add_co_u32_e32 v1, vcc, v1, v6
	v_mul_lo_u32 v8, s2, v1
	s_nop 0
	v_addc_co_u32_e32 v3, vcc, v3, v7, vcc
	v_mul_lo_u32 v6, s2, v3
	v_mul_hi_u32 v7, s2, v1
	v_add_u32_e32 v6, v7, v6
	v_mul_lo_u32 v7, s3, v1
	v_add_u32_e32 v10, v6, v7
	v_mul_hi_u32 v12, v3, v8
	v_mul_lo_u32 v13, v3, v8
	v_mul_hi_u32 v7, v1, v10
	v_mul_lo_u32 v6, v1, v10
	v_mul_hi_u32 v8, v1, v8
	v_mov_b32_e32 v9, v2
	v_lshl_add_u64 v[6:7], v[8:9], 0, v[6:7]
	v_add_co_u32_e32 v6, vcc, v6, v13
	v_mul_hi_u32 v11, v3, v10
	s_nop 0
	v_addc_co_u32_e32 v6, vcc, v7, v12, vcc
	v_mul_lo_u32 v8, v3, v10
	s_nop 0
	v_addc_co_u32_e32 v9, vcc, 0, v11, vcc
	v_mov_b32_e32 v7, v2
	v_lshl_add_u64 v[6:7], v[6:7], 0, v[8:9]
	v_add_co_u32_e32 v1, vcc, v1, v6
	v_mul_hi_u32 v8, v4, v1
	s_nop 0
	v_addc_co_u32_e32 v3, vcc, v3, v7, vcc
	v_mad_u64_u32 v[6:7], s[2:3], v4, v3, 0
	v_mov_b32_e32 v9, v2
	v_lshl_add_u64 v[6:7], v[8:9], 0, v[6:7]
	v_mad_u64_u32 v[10:11], s[2:3], v5, v1, 0
	v_add_co_u32_e32 v1, vcc, v6, v10
	v_mad_u64_u32 v[8:9], s[2:3], v5, v3, 0
	s_nop 0
	v_addc_co_u32_e32 v6, vcc, v7, v11, vcc
	v_mov_b32_e32 v7, v2
	s_nop 0
	v_addc_co_u32_e32 v9, vcc, 0, v9, vcc
	v_lshl_add_u64 v[6:7], v[6:7], 0, v[8:9]
	v_mul_lo_u32 v1, s25, v6
	v_mul_lo_u32 v3, s24, v7
	v_mad_u64_u32 v[8:9], s[2:3], s24, v6, 0
	v_add3_u32 v1, v9, v3, v1
	v_sub_u32_e32 v3, v5, v1
	v_mov_b32_e32 v9, s25
	v_sub_co_u32_e32 v12, vcc, v4, v8
	v_lshl_add_u64 v[10:11], v[6:7], 0, 1
	s_nop 0
	v_subb_co_u32_e64 v3, s[2:3], v3, v9, vcc
	v_subrev_co_u32_e64 v8, s[2:3], s24, v12
	v_subb_co_u32_e32 v1, vcc, v5, v1, vcc
	s_nop 0
	v_subbrev_co_u32_e64 v3, s[2:3], 0, v3, s[2:3]
	v_cmp_le_u32_e64 s[2:3], s25, v3
	v_cmp_le_u32_e32 vcc, s25, v1
	s_nop 0
	v_cndmask_b32_e64 v9, 0, -1, s[2:3]
	v_cmp_le_u32_e64 s[2:3], s24, v8
	s_nop 1
	v_cndmask_b32_e64 v8, 0, -1, s[2:3]
	v_cmp_eq_u32_e64 s[2:3], s25, v3
	s_nop 1
	v_cndmask_b32_e64 v3, v9, v8, s[2:3]
	v_lshl_add_u64 v[8:9], v[6:7], 0, 2
	v_cmp_ne_u32_e64 s[2:3], 0, v3
	s_nop 1
	v_cndmask_b32_e64 v3, v11, v9, s[2:3]
	v_cndmask_b32_e64 v9, 0, -1, vcc
	v_cmp_le_u32_e32 vcc, s24, v12
	s_nop 1
	v_cndmask_b32_e64 v11, 0, -1, vcc
	v_cmp_eq_u32_e32 vcc, s25, v1
	s_nop 1
	v_cndmask_b32_e32 v1, v9, v11, vcc
	v_cmp_ne_u32_e32 vcc, 0, v1
	v_cndmask_b32_e64 v1, v10, v8, s[2:3]
	s_nop 0
	v_cndmask_b32_e32 v9, v7, v3, vcc
	v_cndmask_b32_e32 v8, v6, v1, vcc
.LBB0_4:                                ;   in Loop: Header=BB0_2 Depth=1
	s_andn2_saveexec_b64 s[2:3], s[26:27]
	s_cbranch_execz .LBB0_6
; %bb.5:                                ;   in Loop: Header=BB0_2 Depth=1
	v_cvt_f32_u32_e32 v1, s24
	s_sub_i32 s26, 0, s24
	v_mov_b32_e32 v9, v2
	v_rcp_iflag_f32_e32 v1, v1
	s_nop 0
	v_mul_f32_e32 v1, 0x4f7ffffe, v1
	v_cvt_u32_f32_e32 v1, v1
	v_mul_lo_u32 v3, s26, v1
	v_mul_hi_u32 v3, v1, v3
	v_add_u32_e32 v1, v1, v3
	v_mul_hi_u32 v1, v4, v1
	v_mul_lo_u32 v3, v1, s24
	v_sub_u32_e32 v3, v4, v3
	v_add_u32_e32 v6, 1, v1
	v_subrev_u32_e32 v7, s24, v3
	v_cmp_le_u32_e32 vcc, s24, v3
	s_nop 1
	v_cndmask_b32_e32 v3, v3, v7, vcc
	v_cndmask_b32_e32 v1, v1, v6, vcc
	v_add_u32_e32 v6, 1, v1
	v_cmp_le_u32_e32 vcc, s24, v3
	s_nop 1
	v_cndmask_b32_e32 v8, v1, v6, vcc
.LBB0_6:                                ;   in Loop: Header=BB0_2 Depth=1
	s_or_b64 exec, exec, s[2:3]
	v_mad_u64_u32 v[6:7], s[2:3], v8, s24, 0
	s_load_dwordx2 s[2:3], s[18:19], 0x0
	v_mul_lo_u32 v1, v9, s24
	v_mul_lo_u32 v3, v8, s25
	s_load_dwordx2 s[24:25], s[16:17], 0x0
	s_add_u32 s22, s22, 1
	v_add3_u32 v1, v7, v3, v1
	v_sub_co_u32_e32 v3, vcc, v4, v6
	s_addc_u32 s23, s23, 0
	s_nop 0
	v_subb_co_u32_e32 v1, vcc, v5, v1, vcc
	s_add_u32 s16, s16, 8
	s_waitcnt lgkmcnt(0)
	v_mul_lo_u32 v4, s2, v1
	v_mul_lo_u32 v5, s3, v3
	v_mad_u64_u32 v[82:83], s[2:3], s2, v3, v[82:83]
	s_addc_u32 s17, s17, 0
	v_add3_u32 v83, v5, v83, v4
	v_mul_lo_u32 v1, s24, v1
	v_mul_lo_u32 v4, s25, v3
	v_mad_u64_u32 v[20:21], s[2:3], s24, v3, v[20:21]
	s_add_u32 s18, s18, 8
	v_add3_u32 v21, v4, v21, v1
	s_addc_u32 s19, s19, 0
	v_mov_b64_e32 v[4:5], s[6:7]
	s_add_u32 s20, s20, 8
	v_cmp_ge_u64_e32 vcc, s[22:23], v[4:5]
	s_addc_u32 s21, s21, 0
	s_cbranch_vccnz .LBB0_9
; %bb.7:                                ;   in Loop: Header=BB0_2 Depth=1
	v_mov_b64_e32 v[4:5], v[8:9]
	s_branch .LBB0_2
.LBB0_8:
	v_mov_b64_e32 v[20:21], v[82:83]
	v_mov_b64_e32 v[8:9], v[4:5]
.LBB0_9:
	s_load_dwordx2 s[0:1], s[0:1], 0x28
	s_lshl_b64 s[16:17], s[6:7], 3
	s_add_u32 s2, s14, s16
	s_addc_u32 s3, s15, s17
                                        ; implicit-def: $sgpr14_sgpr15
                                        ; implicit-def: $vgpr165
	s_waitcnt lgkmcnt(0)
	v_cmp_gt_u64_e32 vcc, s[0:1], v[8:9]
	v_cmp_le_u64_e64 s[0:1], s[0:1], v[8:9]
	s_and_saveexec_b64 s[6:7], s[0:1]
	s_xor_b64 s[0:1], exec, s[6:7]
; %bb.10:
	s_mov_b32 s6, 0x539782a
	v_mul_hi_u32 v1, v0, s6
	v_mul_u32_u24_e32 v1, 49, v1
	v_sub_u32_e32 v165, v0, v1
	s_mov_b64 s[14:15], 0
                                        ; implicit-def: $vgpr0
                                        ; implicit-def: $vgpr82_vgpr83
; %bb.11:
	s_or_saveexec_b64 s[6:7], s[0:1]
	v_mov_b64_e32 v[94:95], s[14:15]
	v_mov_b64_e32 v[110:111], s[14:15]
	;; [unrolled: 1-line block ×28, first 2 shown]
                                        ; implicit-def: $vgpr50
                                        ; implicit-def: $vgpr12
                                        ; implicit-def: $vgpr44
                                        ; implicit-def: $vgpr58
                                        ; implicit-def: $vgpr18
                                        ; implicit-def: $vgpr52
                                        ; implicit-def: $vgpr66
                                        ; implicit-def: $vgpr22
                                        ; implicit-def: $vgpr60
                                        ; implicit-def: $vgpr80
                                        ; implicit-def: $vgpr34
                                        ; implicit-def: $vgpr74
                                        ; implicit-def: $vgpr84
                                        ; implicit-def: $vgpr40
                                        ; implicit-def: $vgpr78
                                        ; implicit-def: $vgpr92
                                        ; implicit-def: $vgpr88
                                        ; implicit-def: $vgpr90
                                        ; implicit-def: $vgpr98
                                        ; implicit-def: $vgpr112
                                        ; implicit-def: $vgpr96
	s_xor_b64 exec, exec, s[6:7]
	s_cbranch_execz .LBB0_13
; %bb.12:
	s_add_u32 s0, s12, s16
	s_addc_u32 s1, s13, s17
	s_load_dwordx2 s[0:1], s[0:1], 0x0
	s_mov_b32 s12, 0x539782a
	s_waitcnt lgkmcnt(0)
	v_mul_lo_u32 v1, s1, v8
	v_mul_lo_u32 v4, s0, v9
	v_mad_u64_u32 v[2:3], s[0:1], s0, v8, 0
	v_add3_u32 v3, v3, v4, v1
	v_mul_hi_u32 v1, v0, s12
	v_mul_u32_u24_e32 v1, 49, v1
	v_sub_u32_e32 v165, v0, v1
	v_lshl_add_u64 v[0:1], v[2:3], 3, s[8:9]
	v_lshl_add_u64 v[0:1], v[82:83], 3, v[0:1]
	v_lshlrev_b32_e32 v2, 3, v165
	v_mov_b32_e32 v3, 0
	v_lshl_add_u64 v[0:1], v[0:1], 0, v[2:3]
	s_movk_i32 s0, 0x1000
	v_add_co_u32_e64 v50, s[0:1], s0, v0
	s_nop 1
	v_addc_co_u32_e64 v51, s[0:1], 0, v1, s[0:1]
	s_movk_i32 s0, 0x2000
	s_nop 0
	v_add_co_u32_e64 v58, s[0:1], s0, v0
	s_nop 1
	v_addc_co_u32_e64 v59, s[0:1], 0, v1, s[0:1]
	s_movk_i32 s0, 0x3000
	s_nop 0
	;; [unrolled: 5-line block ×3, first 2 shown]
	v_add_co_u32_e64 v82, s[0:1], s0, v0
	s_nop 1
	v_addc_co_u32_e64 v83, s[0:1], 0, v1, s[0:1]
	global_load_dwordx2 v[78:79], v[58:59], off offset:824
	global_load_dwordx2 v[108:109], v[0:1], off
	global_load_dwordx2 v[72:73], v[0:1], off offset:392
	global_load_dwordx2 v[36:37], v[0:1], off offset:784
	;; [unrolled: 1-line block ×28, first 2 shown]
                                        ; kill: killed $vgpr0 killed $vgpr1
	global_load_dwordx2 v[24:25], v[50:51], off offset:1000
	global_load_dwordx2 v[90:91], v[58:59], off offset:432
	;; [unrolled: 1-line block ×15, first 2 shown]
                                        ; kill: killed $vgpr58 killed $vgpr59
                                        ; kill: killed $vgpr50 killed $vgpr51
                                        ; kill: killed $vgpr66 killed $vgpr67
	global_load_dwordx2 v[80:81], v[82:83], off offset:1256
	s_nop 0
	global_load_dwordx2 v[66:67], v[82:83], off offset:1648
	global_load_dwordx2 v[58:59], v[82:83], off offset:2040
	;; [unrolled: 1-line block ×3, first 2 shown]
.LBB0_13:
	s_or_b64 exec, exec, s[6:7]
	s_waitcnt vmcnt(10)
	v_sub_f32_e32 v82, v110, v112
	v_sub_f32_e32 v83, v111, v113
	v_add_f32_e32 v170, v96, v86
	v_add_f32_e32 v136, v97, v87
	v_sub_f32_e32 v86, v86, v96
	v_sub_f32_e32 v87, v87, v97
	s_waitcnt vmcnt(5)
	v_add_f32_e32 v101, v98, v94
	v_add_f32_e32 v123, v99, v95
	v_sub_f32_e32 v0, v94, v98
	v_sub_f32_e32 v1, v95, v99
	;; [unrolled: 1-line block ×4, first 2 shown]
	s_load_dwordx2 s[14:15], s[2:3], 0x0
	v_sub_f32_e32 v95, v123, v136
	v_add_f32_e32 v96, v82, v86
	v_add_f32_e32 v97, v83, v87
	v_sub_f32_e32 v82, v82, v0
	v_sub_f32_e32 v83, v83, v1
	v_mul_f32_e32 v142, 0xbf08b237, v98
	v_mul_f32_e32 v176, 0xbf08b237, v99
	s_mov_b32 s2, 0x3f5ff5aa
	v_sub_f32_e32 v86, v0, v86
	v_sub_f32_e32 v87, v1, v87
	v_add_f32_e32 v0, v0, v96
	v_add_f32_e32 v1, v1, v97
	v_mul_f32_e32 v138, 0x3f4a47b2, v95
	v_mul_f32_e32 v95, 0x3f5ff5aa, v83
	v_fma_f32 v144, v82, s2, -v142
	v_fma_f32 v178, v83, s2, -v176
	s_mov_b32 s9, 0xbeae86e6
	v_sub_f32_e32 v94, v101, v170
	v_mul_f32_e32 v140, 0x3ee1c552, v0
	v_mul_f32_e32 v172, 0x3ee1c552, v1
	v_fma_f32 v177, v87, s9, -v95
	v_fmac_f32_e32 v144, 0x3ee1c552, v0
	v_fmac_f32_e32 v178, 0x3ee1c552, v1
	v_add_f32_e32 v99, v92, v70
	v_add_f32_e32 v95, v93, v71
	v_sub_f32_e32 v0, v70, v92
	v_sub_f32_e32 v1, v71, v93
	v_sub_f32_e32 v70, v76, v88
	v_sub_f32_e32 v71, v77, v89
	v_add_f32_e32 v180, v90, v68
	v_add_f32_e32 v128, v91, v69
	v_sub_f32_e32 v68, v68, v90
	v_sub_f32_e32 v69, v69, v91
	v_mul_f32_e32 v168, 0x3f4a47b2, v94
	v_mul_f32_e32 v94, 0x3f5ff5aa, v82
	v_sub_f32_e32 v90, v68, v70
	v_sub_f32_e32 v91, v69, v71
	v_fmac_f32_e32 v142, 0x3eae86e6, v86
	v_fmac_f32_e32 v176, 0x3eae86e6, v87
	v_fma_f32 v143, v86, s9, -v94
	v_add_f32_e32 v86, v70, v68
	v_add_f32_e32 v87, v71, v69
	v_sub_f32_e32 v70, v70, v0
	v_sub_f32_e32 v71, v71, v1
	v_mul_f32_e32 v126, 0xbf08b237, v90
	v_mul_f32_e32 v184, 0xbf08b237, v91
	v_sub_f32_e32 v82, v99, v180
	v_sub_f32_e32 v83, v95, v128
	;; [unrolled: 1-line block ×4, first 2 shown]
	v_add_f32_e32 v0, v0, v86
	v_add_f32_e32 v1, v1, v87
	v_fma_f32 v120, v70, s2, -v126
	v_fma_f32 v166, v71, s2, -v184
	v_mul_f32_e32 v174, 0x3f4a47b2, v82
	v_mul_f32_e32 v122, 0x3f4a47b2, v83
	;; [unrolled: 1-line block ×6, first 2 shown]
	v_fmac_f32_e32 v120, 0x3ee1c552, v0
	v_fmac_f32_e32 v166, 0x3ee1c552, v1
	s_waitcnt vmcnt(4)
	v_add_f32_e32 v87, v84, v64
	v_add_f32_e32 v71, v85, v65
	v_sub_f32_e32 v0, v64, v84
	v_sub_f32_e32 v1, v65, v85
	;; [unrolled: 1-line block ×4, first 2 shown]
	v_add_f32_e32 v164, v78, v62
	v_add_f32_e32 v98, v79, v63
	v_sub_f32_e32 v62, v62, v78
	v_sub_f32_e32 v63, v63, v79
	v_fma_f32 v127, v68, s9, -v82
	v_sub_f32_e32 v79, v62, v64
	v_sub_f32_e32 v82, v63, v65
	v_fmac_f32_e32 v184, 0x3eae86e6, v69
	v_fma_f32 v185, v69, s9, -v83
	v_sub_f32_e32 v69, v71, v98
	v_add_f32_e32 v70, v64, v62
	v_add_f32_e32 v78, v65, v63
	v_sub_f32_e32 v64, v64, v0
	v_sub_f32_e32 v65, v65, v1
	v_mul_f32_e32 v96, 0xbf08b237, v79
	v_mul_f32_e32 v162, 0xbf08b237, v82
	v_sub_f32_e32 v62, v0, v62
	v_sub_f32_e32 v63, v1, v63
	v_add_f32_e32 v0, v0, v70
	v_add_f32_e32 v1, v1, v78
	v_mul_f32_e32 v92, 0x3f4a47b2, v69
	v_mul_f32_e32 v69, 0x3f5ff5aa, v65
	v_fma_f32 v90, v64, s2, -v96
	v_fma_f32 v156, v65, s2, -v162
	v_fmac_f32_e32 v126, 0x3eae86e6, v68
	v_sub_f32_e32 v68, v87, v164
	v_mul_f32_e32 v94, 0x3ee1c552, v0
	v_mul_f32_e32 v160, 0x3ee1c552, v1
	v_fmac_f32_e32 v162, 0x3eae86e6, v63
	v_fma_f32 v163, v63, s9, -v69
	v_fmac_f32_e32 v90, 0x3ee1c552, v0
	v_fmac_f32_e32 v156, 0x3ee1c552, v1
	s_waitcnt vmcnt(3)
	v_add_f32_e32 v79, v80, v56
	v_add_f32_e32 v63, v81, v57
	v_sub_f32_e32 v0, v56, v80
	v_sub_f32_e32 v1, v57, v81
	;; [unrolled: 1-line block ×4, first 2 shown]
	v_add_f32_e32 v154, v74, v54
	v_add_f32_e32 v84, v75, v55
	v_sub_f32_e32 v54, v54, v74
	v_sub_f32_e32 v55, v55, v75
	v_mul_f32_e32 v158, 0x3f4a47b2, v68
	v_mul_f32_e32 v68, 0x3f5ff5aa, v64
	v_sub_f32_e32 v69, v54, v56
	v_sub_f32_e32 v70, v55, v57
	v_fma_f32 v97, v62, s9, -v68
	v_sub_f32_e32 v64, v63, v84
	v_add_f32_e32 v65, v56, v54
	v_add_f32_e32 v68, v57, v55
	v_sub_f32_e32 v56, v56, v0
	v_sub_f32_e32 v57, v57, v1
	v_mul_f32_e32 v82, 0xbf08b237, v69
	v_mul_f32_e32 v152, 0xbf08b237, v70
	v_fmac_f32_e32 v96, 0x3eae86e6, v62
	v_sub_f32_e32 v62, v79, v154
	v_sub_f32_e32 v54, v0, v54
	;; [unrolled: 1-line block ×3, first 2 shown]
	v_add_f32_e32 v0, v0, v65
	v_add_f32_e32 v1, v1, v68
	v_mul_f32_e32 v78, 0x3f4a47b2, v64
	v_mul_f32_e32 v64, 0x3f5ff5aa, v57
	v_fma_f32 v74, v56, s2, -v82
	v_fma_f32 v146, v57, s2, -v152
	v_mul_f32_e32 v148, 0x3f4a47b2, v62
	v_mul_f32_e32 v80, 0x3ee1c552, v0
	;; [unrolled: 1-line block ×4, first 2 shown]
	v_fmac_f32_e32 v152, 0x3eae86e6, v55
	v_fma_f32 v153, v55, s9, -v64
	v_fmac_f32_e32 v74, 0x3ee1c552, v0
	v_fmac_f32_e32 v146, 0x3ee1c552, v1
	s_waitcnt vmcnt(2)
	v_add_f32_e32 v75, v66, v46
	v_add_f32_e32 v55, v67, v47
	v_sub_f32_e32 v0, v46, v66
	v_sub_f32_e32 v1, v47, v67
	;; [unrolled: 1-line block ×4, first 2 shown]
	v_add_f32_e32 v134, v60, v48
	v_add_f32_e32 v70, v61, v49
	v_sub_f32_e32 v48, v48, v60
	v_sub_f32_e32 v49, v49, v61
	v_fma_f32 v83, v54, s9, -v62
	v_sub_f32_e32 v61, v48, v46
	v_sub_f32_e32 v62, v49, v47
	v_add_f32_e32 v57, v46, v48
	v_add_f32_e32 v60, v47, v49
	v_sub_f32_e32 v46, v46, v0
	v_sub_f32_e32 v47, v47, v1
	v_mul_f32_e32 v68, 0xbf08b237, v61
	v_mul_f32_e32 v132, 0xbf08b237, v62
	v_fmac_f32_e32 v82, 0x3eae86e6, v54
	v_sub_f32_e32 v54, v75, v134
	v_sub_f32_e32 v56, v55, v70
	;; [unrolled: 1-line block ×4, first 2 shown]
	v_add_f32_e32 v0, v0, v57
	v_add_f32_e32 v1, v1, v60
	v_mul_f32_e32 v57, 0x3f5ff5aa, v47
	v_fma_f32 v62, v46, s2, -v68
	v_fma_f32 v116, v47, s2, -v132
	v_mul_f32_e32 v118, 0x3f4a47b2, v54
	v_mul_f32_e32 v54, 0x3f4a47b2, v56
	;; [unrolled: 1-line block ×5, first 2 shown]
	v_fma_f32 v133, v49, s9, -v57
	v_fmac_f32_e32 v62, 0x3ee1c552, v0
	v_fmac_f32_e32 v116, 0x3ee1c552, v1
	s_waitcnt vmcnt(1)
	v_add_f32_e32 v57, v58, v32
	v_add_f32_e32 v47, v59, v33
	v_sub_f32_e32 v0, v32, v58
	v_sub_f32_e32 v1, v33, v59
	;; [unrolled: 1-line block ×4, first 2 shown]
	v_add_f32_e32 v114, v52, v42
	v_add_f32_e32 v64, v53, v43
	v_sub_f32_e32 v42, v42, v52
	v_sub_f32_e32 v43, v43, v53
	v_fma_f32 v69, v48, s9, -v56
	v_sub_f32_e32 v53, v42, v32
	v_sub_f32_e32 v56, v43, v33
	v_fmac_f32_e32 v68, 0x3eae86e6, v48
	v_fmac_f32_e32 v132, 0x3eae86e6, v49
	v_sub_f32_e32 v48, v47, v64
	v_add_f32_e32 v49, v32, v42
	v_add_f32_e32 v52, v33, v43
	v_sub_f32_e32 v32, v32, v0
	v_sub_f32_e32 v33, v33, v1
	v_mul_f32_e32 v60, 0xbf08b237, v53
	v_mul_f32_e32 v106, 0xbf08b237, v56
	v_sub_f32_e32 v42, v0, v42
	v_sub_f32_e32 v43, v1, v43
	v_add_f32_e32 v0, v0, v49
	v_add_f32_e32 v1, v1, v52
	v_mul_f32_e32 v52, 0x3f4a47b2, v48
	v_mul_f32_e32 v48, 0x3f5ff5aa, v33
	v_fma_f32 v56, v32, s2, -v60
	v_fma_f32 v100, v33, s2, -v106
	v_add_f32_e32 v186, v112, v110
	v_sub_f32_e32 v46, v57, v114
	v_mul_f32_e32 v58, 0x3ee1c552, v0
	v_mul_f32_e32 v104, 0x3ee1c552, v1
	v_fmac_f32_e32 v106, 0x3eae86e6, v43
	v_fma_f32 v107, v43, s9, -v48
	v_fmac_f32_e32 v56, 0x3ee1c552, v0
	v_fmac_f32_e32 v100, 0x3ee1c552, v1
	s_waitcnt vmcnt(0)
	v_add_f32_e32 v1, v50, v24
	v_add_f32_e32 v43, v51, v25
	v_sub_f32_e32 v0, v24, v50
	v_sub_f32_e32 v24, v25, v51
	;; [unrolled: 1-line block ×3, first 2 shown]
	v_add_f32_e32 v86, v44, v26
	v_sub_f32_e32 v26, v26, v44
	v_add_f32_e32 v187, v101, v186
	v_mul_f32_e32 v102, 0x3f4a47b2, v46
	v_mul_f32_e32 v46, 0x3f5ff5aa, v32
	v_sub_f32_e32 v32, v3, v13
	v_add_f32_e32 v50, v45, v27
	v_sub_f32_e32 v27, v27, v45
	v_sub_f32_e32 v48, v26, v25
	v_pk_add_f32 v[188:189], v[170:171], v[186:187] neg_lo:[0,1] neg_hi:[0,1]
	v_pk_add_f32 v[170:171], v[170:171], v[186:187] op_sel_hi:[0,1]
	s_mov_b32 s16, 0x3d64c772
	v_sub_f32_e32 v33, v1, v86
	v_add_f32_e32 v44, v25, v26
	v_add_f32_e32 v45, v32, v27
	v_sub_f32_e32 v49, v27, v32
	v_sub_f32_e32 v25, v25, v0
	;; [unrolled: 1-line block ×3, first 2 shown]
	v_mul_f32_e32 v48, 0xbf08b237, v48
	v_mov_b32_e32 v170, v188
	v_add_f32_e32 v169, v171, v108
	s_mov_b32 s17, 0x3f955555
	v_sub_f32_e32 v51, v0, v26
	v_sub_f32_e32 v27, v24, v27
	v_add_f32_e32 v59, v0, v44
	v_add_f32_e32 v45, v24, v45
	v_mul_f32_e32 v24, 0x3f4a47b2, v33
	v_mul_f32_e32 v32, 0xbf08b237, v49
	;; [unrolled: 1-line block ×4, first 2 shown]
	v_fma_f32 v44, v25, s2, -v48
	v_sub_f32_e32 v25, v186, v101
	v_pk_mul_f32 v[186:187], v[188:189], s[16:17]
	v_pk_fma_f32 v[188:189], v[170:171], s[16:17], v[168:169]
	v_pk_fma_f32 v[170:171], v[170:171], s[16:17], v[168:169] neg_lo:[1,0,0] neg_hi:[1,0,0]
	s_mov_b32 s12, 0x3f3bfb3b
	s_mov_b32 s13, 0xbf3bfb3b
	v_fma_f32 v0, v53, s2, -v32
	v_fmac_f32_e32 v32, 0x3eae86e6, v27
	v_fma_f32 v49, v51, s9, -v33
	v_fma_f32 v33, v27, s9, -v65
	v_mov_b32_e32 v189, v171
	v_fma_f32 v27, v25, s12, -v186
	v_fma_f32 v187, v25, s13, -v168
	v_mov_b32_e32 v186, v171
	v_add_f32_e32 v108, v27, v171
	v_pk_add_f32 v[170:171], v[188:189], v[186:187]
	v_pk_add_f32 v[172:173], v[176:177], v[172:173] op_sel_hi:[1,0]
	v_mul_f32_e32 v26, 0x3ee1c552, v45
	v_fmac_f32_e32 v0, 0x3ee1c552, v45
	v_mad_u32_u24 v45, v165, 28, 0
	v_pk_add_f32 v[176:177], v[170:171], v[172:173]
	ds_write_b32 v45, v169
	ds_write2_b32 v45, v176, v177 offset0:1 offset1:2
	v_pk_add_f32 v[168:169], v[108:109], v[178:179] neg_lo:[0,1] neg_hi:[0,1]
	v_pk_add_f32 v[176:177], v[108:109], v[178:179]
	ds_write2_b32 v45, v168, v176 offset0:3 offset1:4
	v_pk_add_f32 v[168:169], v[170:171], v[172:173] neg_lo:[0,1] neg_hi:[0,1]
	ds_write2_b32 v45, v169, v168 offset0:5 offset1:6
	v_add_f32_e32 v168, v88, v76
	v_add_f32_e32 v169, v99, v168
	v_sub_f32_e32 v25, v168, v99
	v_pk_add_f32 v[170:171], v[180:181], v[168:169] neg_lo:[0,1] neg_hi:[0,1]
	v_pk_add_f32 v[168:169], v[180:181], v[168:169] op_sel_hi:[0,1]
	v_mov_b32_e32 v168, v170
	v_add_f32_e32 v175, v169, v72
	v_pk_mul_f32 v[170:171], v[170:171], s[16:17]
	v_pk_fma_f32 v[172:173], v[168:169], s[16:17], v[174:175]
	v_pk_fma_f32 v[168:169], v[168:169], s[16:17], v[174:175] neg_lo:[1,0,0] neg_hi:[1,0,0]
	v_fma_f32 v27, v25, s12, -v170
	v_mov_b32_e32 v173, v169
	v_fma_f32 v171, v25, s13, -v174
	v_mov_b32_e32 v170, v169
	v_add_f32_e32 v72, v27, v169
	v_pk_add_f32 v[168:169], v[172:173], v[170:171]
	v_pk_add_f32 v[170:171], v[184:185], v[182:183] op_sel_hi:[1,0]
	v_add_u32_e32 v65, 0x560, v45
	v_pk_add_f32 v[172:173], v[168:169], v[170:171]
	ds_write_b32 v45, v175 offset:1372
	ds_write2_b32 v65, v172, v173 offset1:1
	v_add_u32_e32 v53, 0x568, v45
	v_pk_add_f32 v[172:173], v[72:73], v[166:167] neg_lo:[0,1] neg_hi:[0,1]
	v_pk_add_f32 v[166:167], v[72:73], v[166:167]
	v_fma_f32 v61, v42, s9, -v46
	v_mul_f32_e32 v46, 0x3ee1c552, v59
	v_fmac_f32_e32 v44, 0x3ee1c552, v59
	ds_write2_b32 v53, v172, v166 offset1:1
	v_add_u32_e32 v59, 0x570, v45
	v_pk_add_f32 v[166:167], v[168:169], v[170:171] neg_lo:[0,1] neg_hi:[0,1]
	ds_write2_b32 v59, v167, v166 offset1:1
	v_add_f32_e32 v166, v40, v38
	v_add_f32_e32 v167, v87, v166
	v_sub_f32_e32 v25, v166, v87
	v_pk_add_f32 v[168:169], v[164:165], v[166:167] neg_lo:[0,1] neg_hi:[0,1]
	v_pk_add_f32 v[166:167], v[164:165], v[166:167] op_sel_hi:[0,1]
	v_mov_b32_e32 v166, v168
	v_add_f32_e32 v159, v167, v36
	v_pk_mul_f32 v[168:169], v[168:169], s[16:17]
	v_pk_fma_f32 v[170:171], v[166:167], s[16:17], v[158:159]
	v_pk_fma_f32 v[166:167], v[166:167], s[16:17], v[158:159] neg_lo:[1,0,0] neg_hi:[1,0,0]
	v_fma_f32 v27, v25, s12, -v168
	v_mov_b32_e32 v171, v167
	v_fma_f32 v169, v25, s13, -v158
	v_mov_b32_e32 v168, v167
	v_add_f32_e32 v36, v27, v167
	v_pk_add_f32 v[166:167], v[170:171], v[168:169]
	v_pk_add_f32 v[160:161], v[162:163], v[160:161] op_sel_hi:[1,0]
	v_fmac_f32_e32 v48, 0x3eae86e6, v51
	v_add_u32_e32 v51, 0xabc, v45
	v_pk_add_f32 v[162:163], v[166:167], v[160:161]
	ds_write_b32 v45, v159 offset:2744
	ds_write2_b32 v51, v162, v163 offset1:1
	v_add_u32_e32 v38, 0xac4, v45
	v_pk_add_f32 v[158:159], v[36:37], v[156:157] neg_lo:[0,1] neg_hi:[0,1]
	v_pk_add_f32 v[156:157], v[36:37], v[156:157]
	ds_write2_b32 v38, v158, v156 offset1:1
	v_add_u32_e32 v40, 0xacc, v45
	v_pk_add_f32 v[156:157], v[166:167], v[160:161] neg_lo:[0,1] neg_hi:[0,1]
	ds_write2_b32 v40, v157, v156 offset1:1
	v_add_f32_e32 v156, v34, v30
	v_add_f32_e32 v157, v79, v156
	v_pk_add_f32 v[158:159], v[154:155], v[156:157] neg_lo:[0,1] neg_hi:[0,1]
	v_pk_add_f32 v[154:155], v[154:155], v[156:157] op_sel_hi:[0,1]
	v_mov_b32_e32 v154, v158
	v_add_f32_e32 v149, v155, v28
	v_sub_f32_e32 v25, v156, v79
	v_pk_mul_f32 v[156:157], v[158:159], s[16:17]
	v_pk_fma_f32 v[158:159], v[154:155], s[16:17], v[148:149]
	v_pk_fma_f32 v[154:155], v[154:155], s[16:17], v[148:149] neg_lo:[1,0,0] neg_hi:[1,0,0]
	v_fma_f32 v27, v25, s12, -v156
	v_mov_b32_e32 v159, v155
	v_fma_f32 v157, v25, s13, -v148
	v_mov_b32_e32 v156, v155
	v_add_f32_e32 v28, v27, v155
	v_pk_add_f32 v[154:155], v[158:159], v[156:157]
	v_pk_add_f32 v[150:151], v[152:153], v[150:151] op_sel_hi:[1,0]
	v_add_u32_e32 v36, 0x1018, v45
	v_pk_add_f32 v[152:153], v[154:155], v[150:151]
	ds_write_b32 v45, v149 offset:4116
	ds_write2_b32 v36, v152, v153 offset1:1
	v_add_u32_e32 v30, 0x1020, v45
	v_pk_add_f32 v[148:149], v[28:29], v[146:147] neg_lo:[0,1] neg_hi:[0,1]
	v_pk_add_f32 v[146:147], v[28:29], v[146:147]
	ds_write2_b32 v30, v148, v146 offset1:1
	v_add_u32_e32 v34, 0x1028, v45
	v_pk_add_f32 v[146:147], v[154:155], v[150:151] neg_lo:[0,1] neg_hi:[0,1]
	ds_write2_b32 v34, v147, v146 offset1:1
	v_add_f32_e32 v146, v22, v16
	v_add_f32_e32 v147, v75, v146
	v_pk_add_f32 v[148:149], v[134:135], v[146:147] neg_lo:[0,1] neg_hi:[0,1]
	v_pk_add_f32 v[134:135], v[134:135], v[146:147] op_sel_hi:[0,1]
	v_mov_b32_e32 v134, v148
	v_add_f32_e32 v119, v135, v14
	v_sub_f32_e32 v16, v146, v75
	v_pk_mul_f32 v[146:147], v[148:149], s[16:17]
	v_pk_fma_f32 v[148:149], v[134:135], s[16:17], v[118:119]
	v_pk_fma_f32 v[134:135], v[134:135], s[16:17], v[118:119] neg_lo:[1,0,0] neg_hi:[1,0,0]
	v_fma_f32 v14, v16, s12, -v146
	v_mov_b32_e32 v149, v135
	v_fma_f32 v147, v16, s13, -v118
	v_mov_b32_e32 v146, v135
	v_add_f32_e32 v16, v14, v135
	v_pk_add_f32 v[134:135], v[148:149], v[146:147]
	v_pk_add_f32 v[130:131], v[132:133], v[130:131] op_sel_hi:[1,0]
	;; [unrolled: 28-line block ×3, first 2 shown]
	v_add_u32_e32 v22, 0x1ad0, v45
	v_pk_add_f32 v[106:107], v[114:115], v[104:105]
	ds_write_b32 v45, v103 offset:6860
	ds_write2_b32 v22, v106, v107 offset1:1
	v_add_u32_e32 v4, 0x1ad8, v45
	v_pk_add_f32 v[102:103], v[6:7], v[100:101] neg_lo:[0,1] neg_hi:[0,1]
	v_pk_add_f32 v[100:101], v[6:7], v[100:101]
	ds_write2_b32 v4, v102, v100 offset1:1
	v_add_u32_e32 v6, 0x1ae0, v45
	v_pk_add_f32 v[100:101], v[114:115], v[104:105] neg_lo:[0,1] neg_hi:[0,1]
	ds_write2_b32 v6, v101, v100 offset1:1
	v_add_f32_e32 v100, v12, v2
	v_add_f32_e32 v101, v1, v100
	v_lshl_add_u32 v164, v165, 2, 0
	v_add_f32_e32 v174, v113, v111
	v_pk_add_f32 v[102:103], v[86:87], v[100:101] neg_lo:[0,1] neg_hi:[0,1]
	v_pk_add_f32 v[86:87], v[86:87], v[100:101] op_sel_hi:[0,1]
	v_add_u32_e32 v137, 0x400, v164
	v_add_f32_e32 v175, v123, v174
	v_mov_b32_e32 v86, v102
	v_add_f32_e32 v25, v87, v10
	v_sub_f32_e32 v12, v174, v123
	v_pk_add_f32 v[176:177], v[136:137], v[174:175] neg_lo:[0,1] neg_hi:[0,1]
	v_pk_add_f32 v[174:175], v[136:137], v[174:175] op_sel_hi:[0,1]
	v_sub_f32_e32 v1, v100, v1
	v_pk_mul_f32 v[100:101], v[102:103], s[16:17]
	v_pk_fma_f32 v[102:103], v[86:87], s[16:17], v[24:25]
	v_pk_fma_f32 v[86:87], v[86:87], s[16:17], v[24:25] neg_lo:[1,0,0] neg_hi:[1,0,0]
	v_mov_b32_e32 v174, v176
	v_add_f32_e32 v139, v175, v109
	v_mov_b32_e32 v103, v87
	v_fma_f32 v2, v1, s12, -v100
	v_fma_f32 v101, v1, s13, -v24
	v_mov_b32_e32 v100, v87
	v_pk_mul_f32 v[108:109], v[176:177], s[16:17]
	v_pk_fma_f32 v[176:177], v[174:175], s[16:17], v[138:139]
	v_pk_fma_f32 v[174:175], v[174:175], s[16:17], v[138:139] neg_lo:[1,0,0] neg_hi:[1,0,0]
	v_add_u32_e32 v141, 0x126, v165
	v_add_f32_e32 v10, v2, v87
	v_pk_add_f32 v[86:87], v[102:103], v[100:101]
	v_pk_add_f32 v[26:27], v[32:33], v[26:27] op_sel_hi:[1,0]
	v_mov_b32_e32 v177, v175
	v_fma_f32 v67, v12, s12, -v108
	v_fma_f32 v109, v12, s13, -v138
	v_mov_b32_e32 v108, v175
	v_add_u32_e32 v18, 0x202c, v45
	v_pk_add_f32 v[32:33], v[86:87], v[26:27]
	ds_write_b32 v45, v25 offset:8232
	ds_write2_b32 v18, v32, v33 offset1:1
	v_add_u32_e32 v2, 0x2034, v45
	v_pk_add_f32 v[24:25], v[10:11], v[0:1] neg_lo:[0,1] neg_hi:[0,1]
	v_pk_add_f32 v[0:1], v[10:11], v[0:1]
	v_pk_add_f32 v[108:109], v[176:177], v[108:109]
	v_pk_add_f32 v[142:143], v[142:143], v[140:141] op_sel_hi:[1,0]
	v_add_f32_e32 v76, v89, v77
	ds_write2_b32 v2, v24, v0 offset1:1
	v_add_u32_e32 v10, 0x203c, v45
	v_pk_add_f32 v[0:1], v[86:87], v[26:27] neg_lo:[0,1] neg_hi:[0,1]
	v_add_u32_e32 v121, 0x800, v164
	v_add_u32_e32 v112, 0xe00, v164
	;; [unrolled: 1-line block ×11, first 2 shown]
	v_add_f32_e32 v12, v67, v175
	v_pk_add_f32 v[174:175], v[108:109], v[142:143] neg_lo:[0,1] neg_hi:[0,1]
	v_add_f32_e32 v77, v95, v76
	ds_write2_b32 v10, v1, v0 offset1:1
	s_waitcnt lgkmcnt(0)
	; wave barrier
	s_waitcnt lgkmcnt(0)
	ds_read2_b32 v[32:33], v164 offset1:49
	ds_read2_b32 v[0:1], v137 offset0:38 offset1:87
	ds_read2_b32 v[162:163], v121 offset0:174 offset1:223
	ds_read2_b32 v[102:103], v112 offset0:84 offset1:133
	ds_read2_b32 v[160:161], v170 offset0:92 offset1:141
	ds_read2_b32 v[100:101], v168 offset0:130 offset1:179
	ds_read2_b32 v[158:159], v171 offset0:10 offset1:59
	ds_read2_b32 v[156:157], v137 offset0:136 offset1:185
	ds_read2_b32 v[154:155], v110 offset0:54 offset1:103
	ds_read2_b32 v[152:153], v145 offset0:100 offset1:149
	ds_read2_b32 v[26:27], v164 offset0:98 offset1:147
	ds_read2_b32 v[150:151], v169 offset0:16 offset1:65
	ds_read2_b32 v[148:149], v170 offset0:190 offset1:239
	ds_read2_b32 v[146:147], v171 offset0:108 offset1:157
	ds_read2_b32 v[134:135], v167 offset0:106 offset1:155
	ds_read2_b32 v[132:133], v110 offset0:152 offset1:201
	ds_read2_b32 v[130:131], v166 offset0:70 offset1:119
	ds_read2_b32 v[24:25], v164 offset0:196 offset1:245
	ds_read2_b32 v[118:119], v169 offset0:114 offset1:163
	ds_read2_b32 v[116:117], v168 offset0:32 offset1:81
	ds_read2_b32 v[114:115], v171 offset0:206 offset1:255
	ds_read2_b32 v[106:107], v121 offset0:76 offset1:125
	ds_read2_b32 v[104:105], v172 offset0:122 offset1:171
	ds_read2_b32 v[86:87], v166 offset0:168 offset1:217
	ds_read_b32 v57, v164 offset:9408
	s_waitcnt lgkmcnt(0)
	; wave barrier
	s_waitcnt lgkmcnt(0)
	ds_write_b32 v45, v139
	ds_write2_b32 v45, v174, v175 offset0:1 offset1:2
	v_pk_add_f32 v[138:139], v[12:13], v[144:145]
	v_pk_add_f32 v[174:175], v[12:13], v[144:145] neg_lo:[0,1] neg_hi:[0,1]
	v_sub_f32_e32 v12, v76, v95
	v_pk_add_f32 v[88:89], v[128:129], v[76:77] neg_lo:[0,1] neg_hi:[0,1]
	v_pk_add_f32 v[76:77], v[128:129], v[76:77] op_sel_hi:[0,1]
	v_mov_b32_e32 v76, v88
	v_add_f32_e32 v123, v77, v73
	v_pk_mul_f32 v[72:73], v[88:89], s[16:17]
	v_pk_fma_f32 v[88:89], v[76:77], s[16:17], v[122:123]
	v_pk_fma_f32 v[76:77], v[76:77], s[16:17], v[122:123] neg_lo:[1,0,0] neg_hi:[1,0,0]
	v_fma_f32 v67, v12, s12, -v72
	v_mov_b32_e32 v89, v77
	v_fma_f32 v73, v12, s13, -v122
	v_mov_b32_e32 v72, v77
	v_add_f32_e32 v12, v67, v77
	v_pk_add_f32 v[72:73], v[88:89], v[72:73]
	v_pk_add_f32 v[76:77], v[126:127], v[124:125] op_sel_hi:[1,0]
	v_pk_add_f32 v[108:109], v[142:143], v[108:109]
	v_pk_add_f32 v[88:89], v[72:73], v[76:77] neg_lo:[0,1] neg_hi:[0,1]
	v_pk_add_f32 v[72:73], v[76:77], v[72:73]
	ds_write2_b32 v45, v138, v174 offset0:3 offset1:4
	ds_write2_b32 v45, v109, v108 offset0:5 offset1:6
	ds_write_b32 v45, v123 offset:1372
	ds_write2_b32 v65, v88, v89 offset1:1
	ds_write2_b32 v59, v73, v72 offset1:1
	v_add_f32_e32 v72, v41, v39
	v_add_u32_e32 v99, 0xf5, v165
	v_add_f32_e32 v73, v71, v72
	v_pk_add_f32 v[88:89], v[12:13], v[120:121]
	v_pk_add_f32 v[108:109], v[12:13], v[120:121] neg_lo:[0,1] neg_hi:[0,1]
	v_sub_f32_e32 v12, v72, v71
	v_pk_add_f32 v[76:77], v[98:99], v[72:73] neg_lo:[0,1] neg_hi:[0,1]
	v_pk_add_f32 v[72:73], v[98:99], v[72:73] op_sel_hi:[0,1]
	v_mov_b32_e32 v72, v76
	v_add_f32_e32 v93, v73, v37
	ds_write2_b32 v53, v88, v108 offset1:1
	v_pk_mul_f32 v[76:77], v[76:77], s[16:17]
	v_pk_fma_f32 v[88:89], v[72:73], s[16:17], v[92:93]
	v_pk_fma_f32 v[72:73], v[72:73], s[16:17], v[92:93] neg_lo:[1,0,0] neg_hi:[1,0,0]
	v_fma_f32 v37, v12, s12, -v76
	v_mov_b32_e32 v89, v73
	v_fma_f32 v77, v12, s13, -v92
	v_mov_b32_e32 v76, v73
	v_add_f32_e32 v12, v37, v73
	v_pk_add_f32 v[72:73], v[88:89], v[76:77]
	v_pk_add_f32 v[76:77], v[96:97], v[94:95] op_sel_hi:[1,0]
	v_mov_b32_e32 v65, v108
	v_pk_add_f32 v[88:89], v[72:73], v[76:77] neg_lo:[0,1] neg_hi:[0,1]
	ds_write_b32 v45, v93 offset:2744
	ds_write2_b32 v51, v88, v89 offset1:1
	v_pk_add_f32 v[88:89], v[12:13], v[90:91]
	v_pk_add_f32 v[90:91], v[12:13], v[90:91] neg_lo:[0,1] neg_hi:[0,1]
	ds_write2_b32 v38, v88, v90 offset1:1
	v_pk_add_f32 v[38:39], v[76:77], v[72:73]
	ds_write2_b32 v40, v39, v38 offset1:1
	v_add_f32_e32 v38, v35, v31
	v_add_f32_e32 v39, v63, v38
	v_sub_f32_e32 v12, v38, v63
	v_pk_add_f32 v[40:41], v[84:85], v[38:39] neg_lo:[0,1] neg_hi:[0,1]
	v_pk_add_f32 v[38:39], v[84:85], v[38:39] op_sel_hi:[0,1]
	v_mov_b32_e32 v38, v40
	v_add_f32_e32 v79, v39, v29
	v_pk_mul_f32 v[40:41], v[40:41], s[16:17]
	v_pk_fma_f32 v[72:73], v[38:39], s[16:17], v[78:79]
	v_pk_fma_f32 v[38:39], v[38:39], s[16:17], v[78:79] neg_lo:[1,0,0] neg_hi:[1,0,0]
	v_fma_f32 v29, v12, s12, -v40
	v_mov_b32_e32 v73, v39
	v_fma_f32 v41, v12, s13, -v78
	v_mov_b32_e32 v40, v39
	v_add_f32_e32 v12, v29, v39
	v_pk_add_f32 v[38:39], v[72:73], v[40:41]
	v_pk_add_f32 v[40:41], v[82:83], v[80:81] op_sel_hi:[1,0]
	v_fmac_f32_e32 v60, 0x3eae86e6, v42
	v_pk_add_f32 v[72:73], v[38:39], v[40:41] neg_lo:[0,1] neg_hi:[0,1]
	ds_write_b32 v45, v79 offset:4116
	ds_write2_b32 v36, v72, v73 offset1:1
	v_pk_add_f32 v[36:37], v[12:13], v[74:75]
	v_pk_add_f32 v[72:73], v[12:13], v[74:75] neg_lo:[0,1] neg_hi:[0,1]
	ds_write2_b32 v30, v36, v72 offset1:1
	v_pk_add_f32 v[30:31], v[40:41], v[38:39]
	ds_write2_b32 v34, v31, v30 offset1:1
	v_add_f32_e32 v30, v23, v17
	v_add_f32_e32 v31, v55, v30
	v_sub_f32_e32 v12, v30, v55
	v_pk_add_f32 v[34:35], v[70:71], v[30:31] neg_lo:[0,1] neg_hi:[0,1]
	v_pk_add_f32 v[30:31], v[70:71], v[30:31] op_sel_hi:[0,1]
	v_mov_b32_e32 v30, v34
	v_add_f32_e32 v55, v31, v15
	v_pk_mul_f32 v[34:35], v[34:35], s[16:17]
	v_pk_fma_f32 v[36:37], v[30:31], s[16:17], v[54:55]
	v_pk_fma_f32 v[30:31], v[30:31], s[16:17], v[54:55] neg_lo:[1,0,0] neg_hi:[1,0,0]
	v_fma_f32 v15, v12, s12, -v34
	v_mov_b32_e32 v37, v31
	v_fma_f32 v35, v12, s13, -v54
	v_mov_b32_e32 v34, v31
	v_add_f32_e32 v12, v15, v31
	v_pk_add_f32 v[30:31], v[36:37], v[34:35]
	v_pk_add_f32 v[34:35], v[68:69], v[66:67] op_sel_hi:[1,0]
	v_mov_b32_e32 v82, 37
	v_pk_add_f32 v[36:37], v[30:31], v[34:35] neg_lo:[0,1] neg_hi:[0,1]
	ds_write_b32 v45, v55 offset:5488
	ds_write2_b32 v28, v36, v37 offset1:1
	v_pk_add_f32 v[28:29], v[12:13], v[62:63]
	v_pk_add_f32 v[36:37], v[12:13], v[62:63] neg_lo:[0,1] neg_hi:[0,1]
	ds_write2_b32 v14, v28, v36 offset1:1
	v_pk_add_f32 v[14:15], v[34:35], v[30:31]
	ds_write2_b32 v16, v15, v14 offset1:1
	v_add_f32_e32 v14, v19, v7
	v_add_f32_e32 v15, v47, v14
	v_sub_f32_e32 v7, v14, v47
	v_pk_add_f32 v[16:17], v[64:65], v[14:15] neg_lo:[0,1] neg_hi:[0,1]
	v_pk_add_f32 v[14:15], v[64:65], v[14:15] op_sel_hi:[0,1]
	v_mov_b32_e32 v14, v16
	v_add_f32_e32 v53, v15, v5
	v_pk_mul_f32 v[16:17], v[16:17], s[16:17]
	v_pk_fma_f32 v[28:29], v[14:15], s[16:17], v[52:53]
	v_pk_fma_f32 v[14:15], v[14:15], s[16:17], v[52:53] neg_lo:[1,0,0] neg_hi:[1,0,0]
	v_fma_f32 v5, v7, s12, -v16
	v_mov_b32_e32 v29, v15
	v_fma_f32 v17, v7, s13, -v52
	v_mov_b32_e32 v16, v15
	v_add_f32_e32 v12, v5, v15
	v_pk_add_f32 v[14:15], v[28:29], v[16:17]
	v_pk_add_f32 v[16:17], v[60:61], v[58:59] op_sel_hi:[1,0]
	v_mul_lo_u16_sdwa v54, v165, v82 dst_sel:DWORD dst_unused:UNUSED_PAD src0_sel:BYTE_0 src1_sel:DWORD
	v_pk_add_f32 v[28:29], v[14:15], v[16:17] neg_lo:[0,1] neg_hi:[0,1]
	ds_write_b32 v45, v53 offset:6860
	ds_write2_b32 v22, v28, v29 offset1:1
	v_pk_add_f32 v[22:23], v[12:13], v[56:57]
	v_pk_add_f32 v[28:29], v[12:13], v[56:57] neg_lo:[0,1] neg_hi:[0,1]
	ds_write2_b32 v4, v22, v28 offset1:1
	v_pk_add_f32 v[4:5], v[16:17], v[14:15]
	ds_write2_b32 v6, v5, v4 offset1:1
	v_add_f32_e32 v4, v13, v3
	v_add_f32_e32 v5, v43, v4
	v_sub_u16_sdwa v55, v165, v54 dst_sel:DWORD dst_unused:UNUSED_PAD src0_sel:DWORD src1_sel:BYTE_1
	v_sub_f32_e32 v42, v43, v50
	v_sub_f32_e32 v3, v4, v43
	v_pk_add_f32 v[6:7], v[50:51], v[4:5] neg_lo:[0,1] neg_hi:[0,1]
	v_pk_add_f32 v[4:5], v[50:51], v[4:5] op_sel_hi:[0,1]
	v_lshrrev_b16_e32 v55, 1, v55
	v_mul_f32_e32 v42, 0x3f4a47b2, v42
	v_mov_b32_e32 v4, v6
	v_add_f32_e32 v43, v5, v11
	v_and_b32_e32 v55, 0x7f, v55
	v_pk_mul_f32 v[6:7], v[6:7], s[16:17]
	v_pk_fma_f32 v[12:13], v[4:5], s[16:17], v[42:43]
	v_pk_fma_f32 v[4:5], v[4:5], s[16:17], v[42:43] neg_lo:[1,0,0] neg_hi:[1,0,0]
	v_add_u16_sdwa v54, v55, v54 dst_sel:DWORD dst_unused:UNUSED_PAD src0_sel:DWORD src1_sel:BYTE_1
	v_mov_b32_e32 v13, v5
	v_fma_f32 v4, v3, s12, -v6
	v_fma_f32 v7, v3, s13, -v42
	v_mov_b32_e32 v6, v5
	v_lshrrev_b16_e32 v54, 2, v54
	v_pk_add_f32 v[6:7], v[12:13], v[6:7]
	v_pk_add_f32 v[12:13], v[48:49], v[46:47] op_sel_hi:[1,0]
	v_mul_lo_u16_e32 v55, 7, v54
	v_add_f32_e32 v4, v4, v5
	v_pk_add_f32 v[14:15], v[6:7], v[12:13] neg_lo:[0,1] neg_hi:[0,1]
	v_sub_u16_e32 v55, v165, v55
	v_mov_b32_e32 v83, 6
	ds_write_b32 v45, v43 offset:8232
	ds_write2_b32 v18, v14, v15 offset1:1
	v_pk_add_f32 v[14:15], v[4:5], v[44:45]
	v_pk_add_f32 v[4:5], v[4:5], v[44:45] neg_lo:[0,1] neg_hi:[0,1]
	v_mul_u32_u24_sdwa v56, v55, v83 dst_sel:DWORD dst_unused:UNUSED_PAD src0_sel:BYTE_0 src1_sel:DWORD
	ds_write2_b32 v2, v14, v4 offset1:1
	v_pk_add_f32 v[2:3], v[12:13], v[6:7]
	v_lshlrev_b32_e32 v56, 3, v56
	ds_write2_b32 v10, v3, v2 offset1:1
	s_waitcnt lgkmcnt(0)
	; wave barrier
	s_waitcnt lgkmcnt(0)
	ds_read2_b32 v[10:11], v164 offset1:49
	ds_read2_b32 v[2:3], v137 offset0:38 offset1:87
	ds_read2_b32 v[78:79], v121 offset0:174 offset1:223
	;; [unrolled: 1-line block ×23, first 2 shown]
	ds_read_b32 v81, v164 offset:9408
	global_load_dwordx4 v[58:61], v56, s[4:5] offset:32
	global_load_dwordx4 v[62:65], v56, s[4:5] offset:16
	global_load_dwordx4 v[66:69], v56, s[4:5]
	s_movk_i32 s18, 0x2493
	s_mov_b32 s6, 0xbf08b237
	s_mov_b32 s8, 0x3f4a47b2
	;; [unrolled: 1-line block ×4, first 2 shown]
	s_movk_i32 s1, 0x2000
	s_movk_i32 s3, 0x1000
	s_waitcnt vmcnt(2)
	v_mul_f32_e32 v76, v101, v59
	s_waitcnt lgkmcnt(14)
	v_fmac_f32_e32 v76, v15, v58
	s_waitcnt vmcnt(0)
	v_mul_f32_e32 v56, v3, v67
	v_fma_f32 v73, v1, v66, -v56
	v_mul_f32_e32 v74, v1, v67
	v_mul_f32_e32 v1, v78, v69
	v_fma_f32 v71, v162, v68, -v1
	v_mul_f32_e32 v1, v17, v63
	v_fma_f32 v67, v103, v62, -v1
	v_mul_f32_e32 v1, v84, v65
	v_mul_f32_e32 v72, v162, v69
	v_fma_f32 v69, v160, v64, -v1
	v_mul_f32_e32 v1, v15, v59
	v_fmac_f32_e32 v74, v3, v66
	v_fma_f32 v75, v101, v58, -v1
	v_mul_f32_e32 v1, v96, v61
	v_add_u16_e32 v3, 49, v165
	v_fma_f32 v77, v158, v60, -v1
	v_mul_lo_u16_sdwa v1, v3, v82 dst_sel:DWORD dst_unused:UNUSED_PAD src0_sel:BYTE_0 src1_sel:DWORD
	v_sub_u16_sdwa v15, v3, v1 dst_sel:DWORD dst_unused:UNUSED_PAD src0_sel:DWORD src1_sel:BYTE_1
	v_lshrrev_b16_e32 v15, 1, v15
	v_and_b32_e32 v15, 0x7f, v15
	v_add_u16_sdwa v1, v15, v1 dst_sel:DWORD dst_unused:UNUSED_PAD src0_sel:DWORD src1_sel:BYTE_1
	v_lshrrev_b16_e32 v1, 2, v1
	v_mul_lo_u16_e32 v15, 7, v1
	v_sub_u16_e32 v3, v3, v15
	v_mul_u32_u24_sdwa v15, v3, v83 dst_sel:DWORD dst_unused:UNUSED_PAD src0_sel:BYTE_0 src1_sel:DWORD
	v_fmac_f32_e32 v72, v78, v68
	v_mul_f32_e32 v68, v103, v63
	v_mul_f32_e32 v78, v158, v61
	v_lshlrev_b32_e32 v15, 3, v15
	v_fmac_f32_e32 v68, v17, v62
	v_fmac_f32_e32 v78, v96, v60
	global_load_dwordx4 v[88:91], v15, s[4:5] offset:32
	global_load_dwordx4 v[92:95], v15, s[4:5] offset:16
	global_load_dwordx4 v[60:63], v15, s[4:5]
	v_mul_f32_e32 v70, v160, v65
	v_fmac_f32_e32 v70, v84, v64
	v_mul_u32_u24_e32 v1, 0xc4, v1
	s_waitcnt vmcnt(2)
	v_mul_f32_e32 v65, v152, v89
	v_fmac_f32_e32 v65, v48, v88
	s_waitcnt vmcnt(0)
	v_mul_f32_e32 v15, v52, v61
	v_fma_f32 v56, v156, v60, -v15
	v_mul_f32_e32 v58, v156, v61
	v_mul_f32_e32 v15, v79, v63
	v_fmac_f32_e32 v58, v52, v60
	v_fma_f32 v52, v163, v62, -v15
	v_mul_f32_e32 v59, v163, v63
	v_mul_f32_e32 v15, v50, v93
	v_fmac_f32_e32 v59, v79, v62
	;; [unrolled: 4-line block ×3, first 2 shown]
	v_fma_f32 v50, v161, v94, -v15
	v_mul_f32_e32 v15, v48, v89
	v_fma_f32 v64, v152, v88, -v15
	v_mul_f32_e32 v15, v97, v91
	v_add_u16_e32 v61, 0x62, v165
	v_fma_f32 v48, v159, v90, -v15
	v_mul_lo_u16_sdwa v15, v61, v82 dst_sel:DWORD dst_unused:UNUSED_PAD src0_sel:BYTE_0 src1_sel:DWORD
	v_sub_u16_sdwa v17, v61, v15 dst_sel:DWORD dst_unused:UNUSED_PAD src0_sel:DWORD src1_sel:BYTE_1
	v_lshrrev_b16_e32 v17, 1, v17
	v_and_b32_e32 v17, 0x7f, v17
	v_add_u16_sdwa v15, v17, v15 dst_sel:DWORD dst_unused:UNUSED_PAD src0_sel:DWORD src1_sel:BYTE_1
	v_lshrrev_b16_e32 v15, 2, v15
	v_mul_lo_u16_e32 v17, 7, v15
	v_sub_u16_e32 v17, v61, v17
	v_mul_u32_u24_sdwa v79, v17, v83 dst_sel:DWORD dst_unused:UNUSED_PAD src0_sel:BYTE_0 src1_sel:DWORD
	v_mul_f32_e32 v63, v161, v95
	v_mul_f32_e32 v66, v159, v91
	v_lshlrev_b32_e32 v79, 3, v79
	v_fmac_f32_e32 v63, v85, v94
	v_fmac_f32_e32 v66, v97, v90
	global_load_dwordx4 v[94:97], v79, s[4:5] offset:32
	global_load_dwordx4 v[90:93], v79, s[4:5] offset:16
	global_load_dwordx4 v[122:125], v79, s[4:5]
	s_waitcnt vmcnt(1)
	v_mul_f32_e32 v89, v155, v91
	s_waitcnt vmcnt(0)
	v_mul_f32_e32 v80, v157, v123
	v_mul_f32_e32 v88, v150, v125
	;; [unrolled: 1-line block ×3, first 2 shown]
	v_fmac_f32_e32 v80, v53, v122
	s_waitcnt lgkmcnt(13)
	v_mul_f32_e32 v53, v46, v125
	v_fmac_f32_e32 v88, v46, v124
	v_mul_f32_e32 v46, v51, v91
	v_fma_f32 v46, v155, v90, -v46
	v_fmac_f32_e32 v89, v51, v90
	s_waitcnt lgkmcnt(12)
	v_mul_f32_e32 v51, v44, v93
	v_mul_f32_e32 v90, v148, v93
	v_fma_f32 v51, v148, v92, -v51
	v_fmac_f32_e32 v90, v44, v92
	v_mul_f32_e32 v44, v49, v95
	v_mul_f32_e32 v92, v153, v95
	v_fma_f32 v91, v153, v94, -v44
	v_fmac_f32_e32 v92, v49, v94
	s_waitcnt lgkmcnt(11)
	v_mul_f32_e32 v44, v42, v97
	v_mul_f32_e32 v94, v146, v97
	v_fma_f32 v93, v146, v96, -v44
	v_fmac_f32_e32 v94, v42, v96
	v_add_u16_e32 v96, 0x93, v165
	v_mul_lo_u16_sdwa v42, v96, v82 dst_sel:DWORD dst_unused:UNUSED_PAD src0_sel:BYTE_0 src1_sel:DWORD
	v_sub_u16_sdwa v44, v96, v42 dst_sel:DWORD dst_unused:UNUSED_PAD src0_sel:DWORD src1_sel:BYTE_1
	v_lshrrev_b16_e32 v44, 1, v44
	v_and_b32_e32 v44, 0x7f, v44
	v_add_u16_sdwa v42, v44, v42 dst_sel:DWORD dst_unused:UNUSED_PAD src0_sel:DWORD src1_sel:BYTE_1
	v_lshrrev_b16_e32 v42, 2, v42
	v_mul_lo_u16_e32 v44, 7, v42
	v_sub_u16_e32 v44, v96, v44
	v_mul_u32_u24_sdwa v49, v44, v83 dst_sel:DWORD dst_unused:UNUSED_PAD src0_sel:BYTE_0 src1_sel:DWORD
	v_lshlrev_b32_e32 v49, 3, v49
	v_fma_f32 v79, v157, v122, -v79
	v_fma_f32 v53, v150, v124, -v53
	global_load_dwordx4 v[126:129], v49, s[4:5] offset:32
	global_load_dwordx4 v[122:125], v49, s[4:5] offset:16
	global_load_dwordx4 v[152:155], v49, s[4:5]
	v_add_u16_e32 v97, 0xc4, v165
	s_waitcnt vmcnt(1)
	v_mul_f32_e32 v109, v132, v123
	s_waitcnt vmcnt(0)
	v_mul_f32_e32 v98, v134, v153
	s_waitcnt lgkmcnt(10)
	v_mul_f32_e32 v49, v40, v153
	v_fmac_f32_e32 v98, v40, v152
	v_mul_f32_e32 v40, v47, v155
	v_fma_f32 v101, v151, v154, -v40
	s_waitcnt lgkmcnt(9)
	v_mul_f32_e32 v40, v38, v123
	v_fmac_f32_e32 v109, v38, v122
	v_mul_f32_e32 v38, v45, v125
	v_mul_f32_e32 v113, v149, v125
	v_fma_f32 v111, v149, v124, -v38
	v_fmac_f32_e32 v113, v45, v124
	v_mul_f32_e32 v124, v130, v127
	s_waitcnt lgkmcnt(8)
	v_mul_f32_e32 v38, v36, v127
	v_fmac_f32_e32 v124, v36, v126
	v_mul_f32_e32 v36, v43, v129
	v_fma_f32 v125, v147, v128, -v36
	v_mul_lo_u16_sdwa v36, v97, v82 dst_sel:DWORD dst_unused:UNUSED_PAD src0_sel:BYTE_0 src1_sel:DWORD
	v_fma_f32 v123, v130, v126, -v38
	v_sub_u16_sdwa v38, v97, v36 dst_sel:DWORD dst_unused:UNUSED_PAD src0_sel:DWORD src1_sel:BYTE_1
	v_lshrrev_b16_e32 v38, 1, v38
	v_and_b32_e32 v38, 0x7f, v38
	v_add_u16_sdwa v36, v38, v36 dst_sel:DWORD dst_unused:UNUSED_PAD src0_sel:DWORD src1_sel:BYTE_1
	v_lshrrev_b16_e32 v36, 2, v36
	v_mul_lo_u16_e32 v38, 7, v36
	v_sub_u16_e32 v38, v97, v38
	v_fma_f32 v108, v132, v122, -v40
	v_mul_u32_u24_sdwa v40, v38, v83 dst_sel:DWORD dst_unused:UNUSED_PAD src0_sel:BYTE_0 src1_sel:DWORD
	v_lshlrev_b32_e32 v40, 3, v40
	v_fma_f32 v95, v134, v152, -v49
	v_mul_f32_e32 v103, v151, v155
	v_mul_f32_e32 v126, v147, v129
	global_load_dwordx4 v[82:85], v40, s[4:5] offset:32
	global_load_dwordx4 v[146:149], v40, s[4:5] offset:16
	global_load_dwordx4 v[150:153], v40, s[4:5]
	v_fmac_f32_e32 v126, v43, v128
	v_fmac_f32_e32 v103, v47, v154
	s_waitcnt vmcnt(0)
	v_mul_f32_e32 v40, v41, v151
	v_mul_f32_e32 v130, v118, v153
	v_fma_f32 v127, v135, v150, -v40
	v_mul_f32_e32 v128, v135, v151
	s_waitcnt lgkmcnt(6)
	v_mul_f32_e32 v40, v34, v153
	v_fmac_f32_e32 v130, v34, v152
	v_mul_f32_e32 v34, v39, v147
	v_mul_f32_e32 v135, v116, v149
	v_fma_f32 v132, v133, v146, -v34
	s_waitcnt lgkmcnt(5)
	v_mul_f32_e32 v34, v30, v149
	v_fmac_f32_e32 v135, v30, v148
	v_mul_f32_e32 v30, v37, v83
	v_fma_f32 v136, v131, v82, -v30
	s_waitcnt lgkmcnt(4)
	v_mul_f32_e32 v30, v28, v85
	v_fma_f32 v138, v114, v84, -v30
	v_mul_f32_e32 v114, v114, v85
	v_fmac_f32_e32 v114, v28, v84
	v_mul_u32_u24_sdwa v28, v99, s18 dst_sel:DWORD dst_unused:UNUSED_PAD src0_sel:WORD_0 src1_sel:DWORD
	v_sub_u16_sdwa v30, v99, v28 dst_sel:DWORD dst_unused:UNUSED_PAD src0_sel:DWORD src1_sel:WORD_1
	v_lshrrev_b16_e32 v30, 1, v30
	v_add_u16_sdwa v28, v30, v28 dst_sel:DWORD dst_unused:UNUSED_PAD src0_sel:DWORD src1_sel:WORD_1
	v_lshrrev_b16_e32 v28, 2, v28
	v_mul_lo_u16_e32 v30, 7, v28
	v_sub_u16_e32 v30, v99, v30
	v_fma_f32 v134, v116, v148, -v34
	v_mul_u32_u24_e32 v34, 6, v30
	v_mul_f32_e32 v133, v133, v147
	v_mul_f32_e32 v131, v131, v83
	v_lshlrev_b32_e32 v34, 3, v34
	v_fmac_f32_e32 v128, v41, v150
	v_fma_f32 v129, v118, v152, -v40
	v_fmac_f32_e32 v133, v39, v146
	v_fmac_f32_e32 v131, v37, v82
	global_load_dwordx4 v[82:85], v34, s[4:5] offset:32
	global_load_dwordx4 v[146:149], v34, s[4:5] offset:16
	global_load_dwordx4 v[150:153], v34, s[4:5]
	v_sub_f32_e32 v37, v69, v67
	v_sub_f32_e32 v39, v70, v68
	s_waitcnt vmcnt(0) lgkmcnt(3)
	v_mul_f32_e32 v34, v22, v151
	v_fma_f32 v139, v106, v150, -v34
	v_mul_f32_e32 v106, v106, v151
	v_fmac_f32_e32 v106, v22, v150
	v_mul_f32_e32 v22, v35, v153
	v_fma_f32 v140, v119, v152, -v22
	s_waitcnt lgkmcnt(2)
	v_mul_f32_e32 v22, v18, v147
	v_fma_f32 v143, v104, v146, -v22
	v_mul_f32_e32 v104, v104, v147
	v_fmac_f32_e32 v104, v18, v146
	v_mul_f32_e32 v18, v31, v149
	v_mul_f32_e32 v146, v117, v149
	v_fma_f32 v144, v117, v148, -v18
	v_fmac_f32_e32 v146, v31, v148
	v_mul_f32_e32 v148, v86, v83
	s_waitcnt lgkmcnt(1)
	v_mul_f32_e32 v18, v12, v83
	v_fmac_f32_e32 v148, v12, v82
	v_mul_f32_e32 v12, v29, v85
	v_fma_f32 v149, v115, v84, -v12
	v_mul_u32_u24_sdwa v12, v141, s18 dst_sel:DWORD dst_unused:UNUSED_PAD src0_sel:WORD_0 src1_sel:DWORD
	v_fma_f32 v147, v86, v82, -v18
	v_sub_u16_sdwa v18, v141, v12 dst_sel:DWORD dst_unused:UNUSED_PAD src0_sel:DWORD src1_sel:WORD_1
	v_lshrrev_b16_e32 v18, 1, v18
	v_add_u16_sdwa v12, v18, v12 dst_sel:DWORD dst_unused:UNUSED_PAD src0_sel:DWORD src1_sel:WORD_1
	v_lshrrev_b16_e32 v12, 2, v12
	v_mul_lo_u16_e32 v18, 7, v12
	v_sub_u16_e32 v18, v141, v18
	v_mul_u32_u24_e32 v22, 6, v18
	v_mul_f32_e32 v142, v119, v153
	v_mul_f32_e32 v115, v115, v85
	v_lshlrev_b32_e32 v22, 3, v22
	v_fmac_f32_e32 v142, v35, v152
	v_fmac_f32_e32 v115, v29, v84
	global_load_dwordx4 v[82:85], v22, s[4:5] offset:32
	global_load_dwordx4 v[116:119], v22, s[4:5] offset:16
	global_load_dwordx4 v[152:155], v22, s[4:5]
	v_sub_f32_e32 v29, v71, v75
	v_sub_f32_e32 v31, v72, v76
	v_add_f32_e32 v34, v67, v69
	v_add_f32_e32 v35, v68, v70
	v_add_f32_e32 v47, v37, v29
	v_add_f32_e32 v49, v39, v31
	v_sub_f32_e32 v67, v39, v31
	v_sub_f32_e32 v68, v113, v109
	s_waitcnt lgkmcnt(0)
	; wave barrier
	s_waitcnt lgkmcnt(0)
	s_movk_i32 s18, 0x4f
	s_waitcnt vmcnt(2)
	v_mul_f32_e32 v156, v87, v83
	v_fmac_f32_e32 v156, v13, v82
	s_waitcnt vmcnt(0)
	v_mul_f32_e32 v22, v23, v153
	v_fma_f32 v150, v107, v152, -v22
	v_mul_f32_e32 v22, v16, v155
	v_fma_f32 v151, v102, v154, -v22
	v_mul_f32_e32 v102, v102, v155
	v_mul_f32_e32 v107, v107, v153
	v_fmac_f32_e32 v102, v16, v154
	v_mul_f32_e32 v16, v19, v117
	v_mul_f32_e32 v154, v100, v119
	v_fmac_f32_e32 v107, v23, v152
	v_fma_f32 v152, v105, v116, -v16
	v_mul_f32_e32 v16, v14, v119
	v_fmac_f32_e32 v154, v14, v118
	v_mul_f32_e32 v14, v13, v83
	v_mul_f32_e32 v13, v81, v85
	v_fma_f32 v155, v87, v82, -v14
	v_fma_f32 v157, v57, v84, -v13
	v_add_f32_e32 v13, v73, v77
	v_add_f32_e32 v14, v74, v78
	;; [unrolled: 1-line block ×4, first 2 shown]
	v_mul_f32_e32 v105, v105, v117
	v_fma_f32 v153, v100, v118, -v16
	v_sub_f32_e32 v16, v73, v77
	v_add_f32_e32 v40, v22, v13
	v_add_f32_e32 v41, v23, v14
	v_fmac_f32_e32 v105, v19, v116
	v_mul_f32_e32 v158, v57, v85
	v_sub_f32_e32 v19, v74, v78
	v_sub_f32_e32 v43, v22, v13
	;; [unrolled: 1-line block ×9, first 2 shown]
	v_add_f32_e32 v34, v34, v40
	v_add_f32_e32 v35, v35, v41
	v_sub_f32_e32 v37, v16, v37
	v_sub_f32_e32 v39, v19, v39
	;; [unrolled: 1-line block ×3, first 2 shown]
	v_add_f32_e32 v16, v47, v16
	v_add_f32_e32 v19, v49, v19
	;; [unrolled: 1-line block ×4, first 2 shown]
	v_mul_f32_e32 v10, 0x3f4a47b2, v13
	v_mul_f32_e32 v13, 0x3f4a47b2, v14
	;; [unrolled: 1-line block ×8, first 2 shown]
	v_fmamk_f32 v34, v34, 0xbf955555, v116
	v_fmamk_f32 v35, v35, 0xbf955555, v49
	v_fma_f32 v14, v43, s12, -v14
	v_fma_f32 v32, v45, s12, -v32
	;; [unrolled: 1-line block ×3, first 2 shown]
	v_fmac_f32_e32 v10, 0x3d64c772, v22
	v_fma_f32 v22, v45, s13, -v13
	v_fmac_f32_e32 v13, 0x3d64c772, v23
	v_fma_f32 v23, v29, s2, -v40
	v_fmac_f32_e32 v40, 0x3eae86e6, v37
	v_fma_f32 v29, v31, s2, -v41
	v_fma_f32 v31, v37, s9, -v47
	v_fma_f32 v37, v39, s9, -v57
	v_add_f32_e32 v13, v13, v35
	v_add_f32_e32 v14, v14, v34
	;; [unrolled: 1-line block ×4, first 2 shown]
	v_fmac_f32_e32 v40, 0x3ee1c552, v16
	v_fmac_f32_e32 v23, 0x3ee1c552, v16
	;; [unrolled: 1-line block ×6, first 2 shown]
	v_add_f32_e32 v10, v10, v34
	v_add_f32_e32 v34, v43, v34
	v_fmac_f32_e32 v37, 0x3ee1c552, v19
	v_sub_f32_e32 v86, v13, v40
	v_sub_f32_e32 v81, v22, v31
	;; [unrolled: 1-line block ×3, first 2 shown]
	v_add_f32_e32 v83, v23, v32
	v_add_f32_e32 v117, v29, v14
	v_sub_f32_e32 v82, v32, v23
	v_add_f32_e32 v84, v31, v22
	v_add_f32_e32 v85, v40, v13
	;; [unrolled: 1-line block ×6, first 2 shown]
	v_fmac_f32_e32 v41, 0x3ee1c552, v19
	v_add_f32_e32 v118, v37, v34
	v_sub_f32_e32 v119, v34, v37
	v_sub_f32_e32 v16, v56, v48
	;; [unrolled: 1-line block ×5, first 2 shown]
	v_add_f32_e32 v32, v60, v50
	v_add_f32_e32 v34, v62, v63
	v_sub_f32_e32 v35, v50, v60
	v_sub_f32_e32 v37, v63, v62
	v_add_f32_e32 v39, v22, v13
	v_add_f32_e32 v40, v23, v14
	;; [unrolled: 1-line block ×3, first 2 shown]
	v_sub_f32_e32 v10, v10, v41
	v_sub_f32_e32 v41, v22, v13
	;; [unrolled: 1-line block ×7, first 2 shown]
	v_add_f32_e32 v13, v35, v29
	v_add_f32_e32 v47, v37, v31
	v_sub_f32_e32 v48, v35, v29
	v_sub_f32_e32 v50, v37, v31
	;; [unrolled: 1-line block ×4, first 2 shown]
	v_add_f32_e32 v32, v32, v39
	v_add_f32_e32 v34, v34, v40
	v_sub_f32_e32 v35, v16, v35
	v_sub_f32_e32 v37, v19, v37
	v_add_f32_e32 v39, v13, v16
	v_add_f32_e32 v19, v47, v19
	;; [unrolled: 1-line block ×4, first 2 shown]
	v_mul_f32_e32 v11, 0x3f4a47b2, v45
	v_mul_f32_e32 v14, 0x3f4a47b2, v14
	;; [unrolled: 1-line block ×8, first 2 shown]
	v_fmamk_f32 v32, v32, 0xbf955555, v13
	v_fmamk_f32 v34, v34, 0xbf955555, v16
	v_fma_f32 v33, v41, s12, -v33
	v_fma_f32 v40, v43, s12, -v40
	;; [unrolled: 1-line block ×3, first 2 shown]
	v_fmac_f32_e32 v11, 0x3d64c772, v22
	v_fma_f32 v22, v43, s13, -v14
	v_fmac_f32_e32 v14, 0x3d64c772, v23
	v_fma_f32 v43, v29, s2, -v45
	;; [unrolled: 2-line block ×4, first 2 shown]
	v_fma_f32 v37, v37, s9, -v50
	v_add_f32_e32 v11, v11, v32
	v_add_f32_e32 v48, v14, v34
	;; [unrolled: 1-line block ×6, first 2 shown]
	v_fmac_f32_e32 v45, 0x3ee1c552, v39
	v_fmac_f32_e32 v47, 0x3ee1c552, v19
	;; [unrolled: 1-line block ×6, first 2 shown]
	v_add_f32_e32 v34, v47, v11
	v_sub_f32_e32 v22, v48, v45
	v_add_f32_e32 v14, v37, v41
	v_sub_f32_e32 v23, v50, v35
	v_sub_f32_e32 v29, v33, v31
	v_add_f32_e32 v32, v43, v40
	v_add_f32_e32 v19, v31, v33
	v_sub_f32_e32 v33, v40, v43
	v_sub_f32_e32 v31, v41, v37
	v_add_f32_e32 v39, v35, v50
	v_sub_f32_e32 v11, v11, v47
	v_add_f32_e32 v40, v45, v48
	v_add_f32_e32 v35, v79, v93
	;; [unrolled: 1-line block ×5, first 2 shown]
	v_sub_f32_e32 v41, v79, v93
	v_sub_f32_e32 v43, v80, v94
	;; [unrolled: 1-line block ×4, first 2 shown]
	v_add_f32_e32 v52, v46, v51
	v_add_f32_e32 v53, v89, v90
	v_sub_f32_e32 v46, v51, v46
	v_sub_f32_e32 v51, v90, v89
	v_add_f32_e32 v56, v45, v35
	v_add_f32_e32 v57, v47, v37
	v_sub_f32_e32 v58, v45, v35
	v_sub_f32_e32 v59, v47, v37
	;; [unrolled: 1-line block ×6, first 2 shown]
	v_add_f32_e32 v60, v46, v48
	v_add_f32_e32 v62, v51, v50
	v_sub_f32_e32 v63, v46, v48
	v_sub_f32_e32 v64, v51, v50
	v_sub_f32_e32 v48, v48, v41
	v_sub_f32_e32 v50, v50, v43
	v_add_f32_e32 v52, v52, v56
	v_add_f32_e32 v53, v53, v57
	v_sub_f32_e32 v46, v41, v46
	v_sub_f32_e32 v51, v43, v51
	v_add_f32_e32 v41, v60, v41
	v_add_f32_e32 v43, v62, v43
	;; [unrolled: 1-line block ×4, first 2 shown]
	v_mul_f32_e32 v35, 0x3f4a47b2, v35
	v_mul_f32_e32 v37, 0x3f4a47b2, v37
	;; [unrolled: 1-line block ×8, first 2 shown]
	v_fmamk_f32 v52, v52, 0xbf955555, v26
	v_fmamk_f32 v53, v53, 0xbf955555, v6
	v_fma_f32 v56, v58, s12, -v56
	v_fma_f32 v57, v59, s12, -v57
	;; [unrolled: 1-line block ×3, first 2 shown]
	v_fmac_f32_e32 v35, 0x3d64c772, v45
	v_fma_f32 v45, v59, s13, -v37
	v_fmac_f32_e32 v37, 0x3d64c772, v47
	v_fma_f32 v47, v48, s2, -v60
	v_fmac_f32_e32 v60, 0x3eae86e6, v46
	v_fma_f32 v48, v50, s2, -v62
	v_fmac_f32_e32 v62, 0x3eae86e6, v51
	v_fma_f32 v50, v46, s9, -v63
	v_fma_f32 v51, v51, s9, -v64
	v_add_f32_e32 v35, v35, v52
	v_add_f32_e32 v59, v37, v53
	;; [unrolled: 1-line block ×6, first 2 shown]
	v_fmac_f32_e32 v60, 0x3ee1c552, v41
	v_fmac_f32_e32 v62, 0x3ee1c552, v43
	v_fmac_f32_e32 v47, 0x3ee1c552, v41
	v_fmac_f32_e32 v48, 0x3ee1c552, v43
	v_fmac_f32_e32 v50, 0x3ee1c552, v41
	v_fmac_f32_e32 v51, 0x3ee1c552, v43
	v_add_f32_e32 v57, v62, v35
	v_sub_f32_e32 v41, v59, v60
	v_add_f32_e32 v37, v51, v58
	v_sub_f32_e32 v43, v63, v50
	v_sub_f32_e32 v53, v46, v48
	v_add_f32_e32 v45, v47, v56
	v_add_f32_e32 v52, v48, v46
	v_sub_f32_e32 v46, v56, v47
	v_sub_f32_e32 v56, v58, v51
	v_add_f32_e32 v47, v50, v63
	v_sub_f32_e32 v35, v35, v62
	v_add_f32_e32 v48, v60, v59
	v_add_f32_e32 v50, v95, v125
	;; [unrolled: 1-line block ×5, first 2 shown]
	v_sub_f32_e32 v58, v95, v125
	v_sub_f32_e32 v59, v98, v126
	;; [unrolled: 1-line block ×4, first 2 shown]
	v_add_f32_e32 v65, v108, v111
	v_add_f32_e32 v66, v109, v113
	v_sub_f32_e32 v67, v111, v108
	v_add_f32_e32 v69, v60, v50
	v_add_f32_e32 v70, v62, v51
	v_sub_f32_e32 v71, v60, v50
	v_sub_f32_e32 v72, v62, v51
	;; [unrolled: 1-line block ×6, first 2 shown]
	v_add_f32_e32 v73, v67, v63
	v_add_f32_e32 v74, v68, v64
	v_sub_f32_e32 v75, v67, v63
	v_sub_f32_e32 v76, v68, v64
	;; [unrolled: 1-line block ×4, first 2 shown]
	v_add_f32_e32 v65, v65, v69
	v_add_f32_e32 v66, v66, v70
	v_sub_f32_e32 v67, v58, v67
	v_sub_f32_e32 v68, v59, v68
	v_add_f32_e32 v58, v73, v58
	v_add_f32_e32 v59, v74, v59
	;; [unrolled: 1-line block ×4, first 2 shown]
	v_mul_f32_e32 v50, 0x3f4a47b2, v50
	v_mul_f32_e32 v51, 0x3f4a47b2, v51
	;; [unrolled: 1-line block ×8, first 2 shown]
	v_fmamk_f32 v65, v65, 0xbf955555, v27
	v_fmamk_f32 v66, v66, 0xbf955555, v7
	v_fma_f32 v69, v71, s12, -v69
	v_fma_f32 v70, v72, s12, -v70
	;; [unrolled: 1-line block ×3, first 2 shown]
	v_fmac_f32_e32 v50, 0x3d64c772, v60
	v_fma_f32 v60, v72, s13, -v51
	v_fmac_f32_e32 v51, 0x3d64c772, v62
	v_fma_f32 v72, v63, s2, -v73
	;; [unrolled: 2-line block ×3, first 2 shown]
	v_fma_f32 v67, v67, s9, -v75
	v_fma_f32 v64, v68, s9, -v76
	v_fmac_f32_e32 v74, 0x3eae86e6, v68
	v_add_f32_e32 v68, v50, v65
	v_add_f32_e32 v69, v69, v65
	;; [unrolled: 1-line block ×5, first 2 shown]
	v_fmac_f32_e32 v72, 0x3ee1c552, v58
	v_fmac_f32_e32 v67, 0x3ee1c552, v58
	;; [unrolled: 1-line block ×3, first 2 shown]
	v_add_f32_e32 v75, v51, v66
	v_fmac_f32_e32 v73, 0x3ee1c552, v58
	v_fmac_f32_e32 v74, 0x3ee1c552, v59
	;; [unrolled: 1-line block ×3, first 2 shown]
	v_add_f32_e32 v59, v64, v65
	v_sub_f32_e32 v51, v71, v67
	v_add_f32_e32 v60, v72, v70
	v_sub_f32_e32 v78, v70, v72
	v_sub_f32_e32 v64, v65, v64
	v_add_f32_e32 v79, v67, v71
	v_add_f32_e32 v65, v127, v138
	;; [unrolled: 1-line block ×6, first 2 shown]
	v_sub_f32_e32 v50, v75, v73
	v_sub_f32_e32 v63, v69, v62
	v_add_f32_e32 v62, v62, v69
	v_sub_f32_e32 v58, v68, v74
	v_add_f32_e32 v80, v73, v75
	v_sub_f32_e32 v68, v127, v138
	v_sub_f32_e32 v69, v128, v114
	v_sub_f32_e32 v72, v129, v136
	v_sub_f32_e32 v73, v130, v131
	v_add_f32_e32 v74, v132, v134
	v_add_f32_e32 v75, v133, v135
	v_sub_f32_e32 v76, v134, v132
	v_sub_f32_e32 v77, v135, v133
	v_add_f32_e32 v87, v70, v65
	v_add_f32_e32 v88, v71, v67
	v_sub_f32_e32 v89, v70, v65
	v_sub_f32_e32 v90, v71, v67
	;; [unrolled: 1-line block ×6, first 2 shown]
	v_add_f32_e32 v65, v76, v72
	v_add_f32_e32 v92, v77, v73
	v_sub_f32_e32 v93, v76, v72
	v_sub_f32_e32 v94, v77, v73
	;; [unrolled: 1-line block ×4, first 2 shown]
	v_add_f32_e32 v74, v74, v87
	v_add_f32_e32 v75, v75, v88
	v_sub_f32_e32 v76, v68, v76
	v_sub_f32_e32 v77, v69, v77
	v_add_f32_e32 v68, v65, v68
	v_add_f32_e32 v69, v92, v69
	;; [unrolled: 1-line block ×4, first 2 shown]
	v_mul_f32_e32 v4, 0x3f4a47b2, v91
	v_mul_f32_e32 v67, 0x3f4a47b2, v67
	;; [unrolled: 1-line block ×8, first 2 shown]
	v_fmamk_f32 v74, v74, 0xbf955555, v65
	v_fmamk_f32 v75, v75, 0xbf955555, v24
	v_fma_f32 v87, v89, s12, -v87
	v_fma_f32 v88, v90, s12, -v88
	;; [unrolled: 1-line block ×3, first 2 shown]
	v_fmac_f32_e32 v4, 0x3d64c772, v70
	v_fma_f32 v70, v90, s13, -v67
	v_fmac_f32_e32 v67, 0x3d64c772, v71
	v_fma_f32 v71, v72, s2, -v92
	;; [unrolled: 2-line block ×4, first 2 shown]
	v_fma_f32 v77, v77, s9, -v94
	v_add_f32_e32 v4, v4, v74
	v_add_f32_e32 v94, v67, v75
	;; [unrolled: 1-line block ×6, first 2 shown]
	v_fmac_f32_e32 v71, 0x3ee1c552, v68
	v_fmac_f32_e32 v73, 0x3ee1c552, v69
	;; [unrolled: 1-line block ×6, first 2 shown]
	v_add_f32_e32 v67, v77, v74
	v_sub_f32_e32 v88, v75, v76
	v_sub_f32_e32 v69, v90, v73
	v_add_f32_e32 v89, v71, v91
	v_add_f32_e32 v68, v73, v90
	v_sub_f32_e32 v90, v91, v71
	v_sub_f32_e32 v70, v74, v77
	v_add_f32_e32 v91, v76, v75
	v_add_f32_e32 v71, v139, v149
	v_add_f32_e32 v73, v106, v115
	v_add_f32_e32 v76, v140, v147
	v_add_f32_e32 v77, v142, v148
	v_add_f32_e32 v72, v93, v4
	v_sub_f32_e32 v87, v94, v92
	v_sub_f32_e32 v4, v4, v93
	v_add_f32_e32 v92, v92, v94
	v_sub_f32_e32 v75, v106, v115
	v_sub_f32_e32 v93, v140, v147
	;; [unrolled: 1-line block ×3, first 2 shown]
	v_add_f32_e32 v95, v143, v144
	v_add_f32_e32 v98, v104, v146
	v_sub_f32_e32 v100, v144, v143
	v_sub_f32_e32 v101, v146, v104
	v_add_f32_e32 v103, v76, v71
	v_add_f32_e32 v104, v77, v73
	v_sub_f32_e32 v74, v139, v149
	v_sub_f32_e32 v106, v76, v71
	;; [unrolled: 1-line block ×7, first 2 shown]
	v_add_f32_e32 v71, v100, v93
	v_add_f32_e32 v111, v101, v94
	v_sub_f32_e32 v113, v100, v93
	v_sub_f32_e32 v114, v101, v94
	;; [unrolled: 1-line block ×3, first 2 shown]
	v_add_f32_e32 v95, v95, v103
	v_add_f32_e32 v98, v98, v104
	v_sub_f32_e32 v100, v74, v100
	v_sub_f32_e32 v101, v75, v101
	;; [unrolled: 1-line block ×3, first 2 shown]
	v_add_f32_e32 v74, v71, v74
	v_add_f32_e32 v75, v111, v75
	v_add_f32_e32 v71, v25, v95
	v_add_f32_e32 v25, v5, v98
	v_mul_f32_e32 v5, 0x3f4a47b2, v109
	v_mul_f32_e32 v73, 0x3f4a47b2, v73
	;; [unrolled: 1-line block ×8, first 2 shown]
	v_fmamk_f32 v95, v95, 0xbf955555, v71
	v_fmamk_f32 v98, v98, 0xbf955555, v25
	v_fma_f32 v103, v106, s12, -v103
	v_fma_f32 v104, v108, s12, -v104
	;; [unrolled: 1-line block ×3, first 2 shown]
	v_fmac_f32_e32 v5, 0x3d64c772, v76
	v_fma_f32 v76, v108, s13, -v73
	v_fmac_f32_e32 v73, 0x3d64c772, v77
	v_fma_f32 v108, v93, s2, -v109
	;; [unrolled: 2-line block ×4, first 2 shown]
	v_fma_f32 v100, v100, s9, -v113
	v_add_f32_e32 v113, v73, v98
	v_add_f32_e32 v104, v104, v98
	;; [unrolled: 1-line block ×3, first 2 shown]
	v_fmac_f32_e32 v109, 0x3ee1c552, v74
	v_fmac_f32_e32 v108, 0x3ee1c552, v74
	;; [unrolled: 1-line block ×3, first 2 shown]
	v_add_f32_e32 v5, v5, v95
	v_add_f32_e32 v103, v103, v95
	;; [unrolled: 1-line block ×3, first 2 shown]
	v_fmac_f32_e32 v111, 0x3ee1c552, v75
	v_fmac_f32_e32 v115, 0x3ee1c552, v75
	;; [unrolled: 1-line block ×3, first 2 shown]
	v_sub_f32_e32 v93, v113, v109
	v_add_f32_e32 v73, v101, v106
	v_add_f32_e32 v95, v108, v104
	v_sub_f32_e32 v98, v104, v108
	v_sub_f32_e32 v76, v106, v101
	v_add_f32_e32 v101, v109, v113
	v_add_f32_e32 v104, v107, v158
	;; [unrolled: 1-line block ×4, first 2 shown]
	v_sub_f32_e32 v94, v114, v100
	v_sub_f32_e32 v75, v103, v115
	v_add_f32_e32 v74, v115, v103
	v_add_f32_e32 v100, v100, v114
	v_sub_f32_e32 v5, v5, v111
	v_add_f32_e32 v103, v150, v157
	v_add_f32_e32 v108, v151, v155
	v_sub_f32_e32 v111, v151, v155
	v_add_f32_e32 v114, v105, v154
	v_sub_f32_e32 v115, v153, v152
	;; [unrolled: 2-line block ×3, first 2 shown]
	v_sub_f32_e32 v107, v107, v158
	v_sub_f32_e32 v102, v102, v156
	v_add_f32_e32 v113, v152, v153
	v_sub_f32_e32 v105, v154, v105
	v_add_f32_e32 v123, v108, v103
	v_sub_f32_e32 v126, v109, v104
	v_sub_f32_e32 v104, v104, v114
	;; [unrolled: 1-line block ×4, first 2 shown]
	v_add_f32_e32 v114, v114, v124
	v_sub_f32_e32 v125, v108, v103
	v_sub_f32_e32 v103, v103, v113
	;; [unrolled: 1-line block ×3, first 2 shown]
	v_add_f32_e32 v127, v115, v111
	v_add_f32_e32 v128, v105, v102
	v_sub_f32_e32 v130, v105, v102
	v_sub_f32_e32 v111, v111, v106
	;; [unrolled: 1-line block ×3, first 2 shown]
	v_add_f32_e32 v113, v113, v123
	v_add_f32_e32 v102, v2, v114
	v_mul_f32_e32 v123, 0x3d64c772, v109
	v_mul_f32_e32 v124, 0xbf08b237, v129
	v_sub_f32_e32 v115, v106, v115
	v_sub_f32_e32 v105, v107, v105
	v_add_f32_e32 v106, v127, v106
	v_add_f32_e32 v107, v128, v107
	v_mul_f32_e32 v2, 0x3f4a47b2, v103
	v_mul_f32_e32 v103, 0x3f4a47b2, v104
	;; [unrolled: 1-line block ×4, first 2 shown]
	v_fmamk_f32 v114, v114, 0xbf955555, v102
	v_fma_f32 v123, v126, s12, -v123
	v_fma_f32 v111, v111, s2, -v124
	v_mul_f32_e32 v127, 0xbf08b237, v130
	v_mul_f32_e32 v129, 0x3f5ff5aa, v131
	v_fma_f32 v104, v125, s12, -v104
	v_fma_f32 v125, v125, s13, -v2
	v_fmac_f32_e32 v2, 0x3d64c772, v108
	v_fma_f32 v108, v126, s13, -v103
	v_fmac_f32_e32 v124, 0x3eae86e6, v115
	v_fma_f32 v126, v115, s9, -v128
	v_add_f32_e32 v123, v123, v114
	v_fmac_f32_e32 v111, 0x3ee1c552, v106
	v_fmac_f32_e32 v103, 0x3d64c772, v109
	v_fma_f32 v109, v131, s2, -v127
	v_fmac_f32_e32 v127, 0x3eae86e6, v105
	v_fma_f32 v128, v105, s9, -v129
	v_fmac_f32_e32 v124, 0x3ee1c552, v106
	v_fmac_f32_e32 v126, 0x3ee1c552, v106
	v_add_f32_e32 v105, v111, v123
	v_sub_f32_e32 v106, v123, v111
	v_mul_u32_u24_e32 v123, 0xc4, v54
	v_mov_b32_e32 v54, 2
	v_lshlrev_b32_sdwa v55, v54, v55 dst_sel:DWORD dst_unused:UNUSED_PAD src0_sel:DWORD src1_sel:BYTE_0
	v_add3_u32 v123, 0, v123, v55
	v_lshlrev_b32_sdwa v3, v54, v3 dst_sel:DWORD dst_unused:UNUSED_PAD src0_sel:DWORD src1_sel:BYTE_0
	ds_write2_b32 v123, v116, v122 offset1:7
	ds_write2_b32 v123, v118, v120 offset0:14 offset1:21
	ds_write2_b32 v123, v117, v119 offset0:28 offset1:35
	ds_write_b32 v123, v10 offset:168
	v_add3_u32 v116, 0, v1, v3
	v_mul_u32_u24_e32 v1, 0xc4, v15
	v_lshlrev_b32_sdwa v3, v54, v17 dst_sel:DWORD dst_unused:UNUSED_PAD src0_sel:DWORD src1_sel:BYTE_0
	v_add3_u32 v17, 0, v1, v3
	v_mul_u32_u24_e32 v1, 0xc4, v42
	v_lshlrev_b32_sdwa v3, v54, v44 dst_sel:DWORD dst_unused:UNUSED_PAD src0_sel:DWORD src1_sel:BYTE_0
	v_add_f32_e32 v0, v0, v113
	v_add3_u32 v42, 0, v1, v3
	v_mul_u32_u24_e32 v1, 0xc4, v36
	v_lshlrev_b32_sdwa v3, v54, v38 dst_sel:DWORD dst_unused:UNUSED_PAD src0_sel:DWORD src1_sel:BYTE_0
	v_fmamk_f32 v113, v113, 0xbf955555, v0
	v_add3_u32 v38, 0, v1, v3
	v_mul_u32_u24_e32 v1, 0xc4, v28
	v_lshlrev_b32_e32 v3, 2, v30
	v_add_f32_e32 v2, v2, v113
	v_add_f32_e32 v130, v104, v113
	v_fmac_f32_e32 v127, 0x3ee1c552, v107
	v_fmac_f32_e32 v109, 0x3ee1c552, v107
	v_add3_u32 v44, 0, v1, v3
	v_mul_u32_u24_e32 v1, 0xc4, v12
	v_lshlrev_b32_e32 v3, 2, v18
	v_add_f32_e32 v129, v103, v114
	v_add_f32_e32 v125, v125, v113
	;; [unrolled: 1-line block ×3, first 2 shown]
	v_fmac_f32_e32 v128, 0x3ee1c552, v107
	v_add_f32_e32 v115, v127, v2
	v_sub_f32_e32 v114, v130, v109
	v_add_f32_e32 v109, v109, v130
	v_sub_f32_e32 v2, v2, v127
	v_add3_u32 v117, 0, v1, v3
	v_sub_f32_e32 v103, v129, v124
	v_add_f32_e32 v113, v128, v125
	v_sub_f32_e32 v104, v108, v126
	v_sub_f32_e32 v111, v125, v128
	v_add_f32_e32 v107, v126, v108
	v_add_f32_e32 v108, v124, v129
	ds_write2_b32 v116, v13, v34 offset1:7
	ds_write2_b32 v116, v14, v29 offset0:14 offset1:21
	ds_write2_b32 v116, v19, v31 offset0:28 offset1:35
	ds_write_b32 v116, v11 offset:168
	ds_write2_b32 v17, v26, v57 offset1:7
	ds_write2_b32 v17, v37, v53 offset0:14 offset1:21
	ds_write2_b32 v17, v52, v56 offset0:28 offset1:35
	ds_write_b32 v17, v35 offset:168
	;; [unrolled: 4-line block ×6, first 2 shown]
	s_waitcnt lgkmcnt(0)
	; wave barrier
	s_waitcnt lgkmcnt(0)
	ds_read2_b32 v[18:19], v164 offset1:49
	ds_read2_b32 v[10:11], v137 offset0:38 offset1:87
	ds_read2_b32 v[76:77], v121 offset0:174 offset1:223
	;; [unrolled: 1-line block ×23, first 2 shown]
	ds_read_b32 v109, v164 offset:9408
	s_waitcnt lgkmcnt(0)
	; wave barrier
	s_waitcnt lgkmcnt(0)
	ds_write2_b32 v123, v49, v86 offset1:7
	ds_write2_b32 v123, v81, v83 offset0:14 offset1:21
	ds_write2_b32 v123, v82, v84 offset0:28 offset1:35
	ds_write_b32 v123, v85 offset:168
	ds_write2_b32 v116, v16, v22 offset1:7
	ds_write2_b32 v116, v23, v32 offset0:14 offset1:21
	ds_write2_b32 v116, v33, v39 offset0:28 offset1:35
	ds_write_b32 v116, v40 offset:168
	;; [unrolled: 4-line block ×7, first 2 shown]
	v_mul_u32_u24_e32 v60, 6, v165
	v_lshlrev_b32_e32 v60, 3, v60
	s_waitcnt lgkmcnt(0)
	; wave barrier
	s_waitcnt lgkmcnt(0)
	ds_read2_b32 v[32:33], v164 offset1:49
	ds_read2_b32 v[16:17], v137 offset0:38 offset1:87
	ds_read2_b32 v[104:105], v121 offset0:174 offset1:223
	;; [unrolled: 1-line block ×23, first 2 shown]
	ds_read_b32 v98, v164 offset:9408
	global_load_dwordx4 v[124:127], v60, s[4:5] offset:368
	global_load_dwordx4 v[128:131], v60, s[4:5] offset:352
	;; [unrolled: 1-line block ×3, first 2 shown]
	s_waitcnt vmcnt(2)
	v_mul_f32_e32 v116, v29, v125
	s_waitcnt vmcnt(1)
	v_mul_f32_e32 v101, v35, v129
	s_waitcnt vmcnt(0) lgkmcnt(14)
	v_mul_f32_e32 v100, v17, v133
	v_fma_f32 v111, v11, v132, -v100
	v_mul_f32_e32 v113, v11, v133
	v_mul_f32_e32 v11, v104, v135
	v_fma_f32 v102, v76, v134, -v11
	v_mul_f32_e32 v11, v45, v129
	v_fma_f32 v100, v35, v128, -v11
	v_mul_f32_e32 v11, v106, v131
	v_fmac_f32_e32 v101, v45, v128
	v_fma_f32 v45, v74, v130, -v11
	v_mul_f32_e32 v11, v41, v125
	v_fma_f32 v115, v29, v124, -v11
	v_mul_f32_e32 v11, v118, v127
	;; [unrolled: 2-line block ×3, first 2 shown]
	v_fmac_f32_e32 v116, v41, v124
	v_fma_f32 v41, v70, v132, -v11
	v_mul_f32_e32 v11, v105, v135
	v_mul_f32_e32 v122, v72, v127
	v_fma_f32 v72, v77, v134, -v11
	v_mul_f32_e32 v11, v92, v129
	v_mul_f32_e32 v103, v76, v135
	v_fma_f32 v76, v68, v128, -v11
	v_mul_f32_e32 v11, v107, v131
	v_fmac_f32_e32 v103, v104, v134
	v_mul_f32_e32 v104, v74, v131
	v_mul_f32_e32 v74, v77, v135
	;; [unrolled: 1-line block ×3, first 2 shown]
	v_fma_f32 v77, v75, v130, -v11
	v_mul_f32_e32 v11, v90, v125
	v_fmac_f32_e32 v68, v92, v128
	v_fma_f32 v92, v66, v124, -v11
	v_mul_f32_e32 v66, v66, v125
	v_mul_f32_e32 v11, v119, v127
	v_fmac_f32_e32 v66, v90, v124
	v_fma_f32 v90, v73, v126, -v11
	v_mul_lo_u16_sdwa v11, v61, s18 dst_sel:DWORD dst_unused:UNUSED_PAD src0_sel:BYTE_0 src1_sel:DWORD
	v_fmac_f32_e32 v113, v17, v132
	v_sub_u16_sdwa v17, v61, v11 dst_sel:DWORD dst_unused:UNUSED_PAD src0_sel:DWORD src1_sel:BYTE_1
	v_lshrrev_b16_e32 v17, 1, v17
	v_and_b32_e32 v17, 0x7f, v17
	v_add_u16_sdwa v11, v17, v11 dst_sel:DWORD dst_unused:UNUSED_PAD src0_sel:DWORD src1_sel:BYTE_1
	v_lshrrev_b16_e32 v11, 5, v11
	v_mul_lo_u16_e32 v11, 49, v11
	v_sub_u16_e32 v11, v61, v11
	v_and_b32_e32 v29, 0xff, v11
	v_mul_u32_u24_e32 v11, 6, v29
	v_mul_f32_e32 v70, v70, v133
	v_mul_f32_e32 v75, v75, v131
	;; [unrolled: 1-line block ×3, first 2 shown]
	v_lshlrev_b32_e32 v11, 3, v11
	v_fmac_f32_e32 v104, v106, v130
	v_fmac_f32_e32 v122, v118, v126
	;; [unrolled: 1-line block ×6, first 2 shown]
	global_load_dwordx4 v[124:127], v11, s[4:5] offset:368
	global_load_dwordx4 v[128:131], v11, s[4:5] offset:352
	;; [unrolled: 1-line block ×3, first 2 shown]
	v_lshl_add_u32 v29, v29, 2, 0
	s_waitcnt vmcnt(2)
	v_mul_f32_e32 v118, v67, v125
	s_waitcnt vmcnt(1)
	v_mul_f32_e32 v108, v69, v129
	;; [unrolled: 2-line block ×3, first 2 shown]
	v_fma_f32 v94, v71, v132, -v11
	v_mul_f32_e32 v105, v71, v133
	s_waitcnt lgkmcnt(13)
	v_mul_f32_e32 v11, v88, v135
	v_fmac_f32_e32 v105, v95, v132
	v_fma_f32 v95, v64, v134, -v11
	v_mul_f32_e32 v11, v93, v129
	v_fma_f32 v107, v69, v128, -v11
	s_waitcnt lgkmcnt(12)
	v_mul_f32_e32 v11, v86, v131
	v_fmac_f32_e32 v108, v93, v128
	v_fma_f32 v93, v62, v130, -v11
	v_mul_f32_e32 v11, v91, v125
	v_fma_f32 v117, v67, v124, -v11
	s_waitcnt lgkmcnt(11)
	v_mul_f32_e32 v11, v84, v127
	v_fmac_f32_e32 v118, v91, v124
	v_fma_f32 v91, v58, v126, -v11
	v_mul_lo_u16_sdwa v11, v96, s18 dst_sel:DWORD dst_unused:UNUSED_PAD src0_sel:BYTE_0 src1_sel:DWORD
	v_sub_u16_sdwa v17, v96, v11 dst_sel:DWORD dst_unused:UNUSED_PAD src0_sel:DWORD src1_sel:BYTE_1
	v_lshrrev_b16_e32 v17, 1, v17
	v_and_b32_e32 v17, 0x7f, v17
	v_add_u16_sdwa v11, v17, v11 dst_sel:DWORD dst_unused:UNUSED_PAD src0_sel:DWORD src1_sel:BYTE_1
	v_lshrrev_b16_e32 v11, 5, v11
	v_mul_lo_u16_e32 v11, 49, v11
	v_sub_u16_e32 v11, v96, v11
	v_and_b32_e32 v17, 0xff, v11
	v_mul_u32_u24_e32 v11, 6, v17
	v_mul_f32_e32 v106, v64, v135
	v_mul_f32_e32 v114, v62, v131
	;; [unrolled: 1-line block ×3, first 2 shown]
	v_lshlrev_b32_e32 v11, 3, v11
	v_fmac_f32_e32 v106, v88, v134
	v_fmac_f32_e32 v114, v86, v130
	;; [unrolled: 1-line block ×3, first 2 shown]
	global_load_dwordx4 v[124:127], v11, s[4:5] offset:368
	global_load_dwordx4 v[128:131], v11, s[4:5] offset:352
	;; [unrolled: 1-line block ×3, first 2 shown]
	v_lshl_add_u32 v17, v17, 2, 0
	s_waitcnt vmcnt(2)
	v_mul_f32_e32 v88, v59, v127
	s_waitcnt vmcnt(1)
	v_mul_f32_e32 v84, v63, v131
	s_waitcnt vmcnt(0) lgkmcnt(10)
	v_mul_f32_e32 v11, v82, v133
	v_fma_f32 v64, v56, v132, -v11
	v_mul_f32_e32 v11, v89, v135
	v_mul_f32_e32 v67, v56, v133
	v_fma_f32 v69, v65, v134, -v11
	s_waitcnt lgkmcnt(9)
	v_mul_f32_e32 v11, v80, v129
	v_fmac_f32_e32 v67, v82, v132
	v_fma_f32 v71, v54, v128, -v11
	v_mul_f32_e32 v82, v54, v129
	v_mul_f32_e32 v11, v87, v131
	v_fmac_f32_e32 v82, v80, v128
	v_fma_f32 v80, v63, v130, -v11
	s_waitcnt lgkmcnt(8)
	v_mul_f32_e32 v11, v78, v125
	v_fmac_f32_e32 v84, v87, v130
	v_fma_f32 v86, v52, v124, -v11
	v_mul_f32_e32 v87, v52, v125
	v_mul_f32_e32 v11, v85, v127
	v_fmac_f32_e32 v87, v78, v124
	v_fma_f32 v78, v59, v126, -v11
	v_mul_lo_u16_sdwa v11, v97, s18 dst_sel:DWORD dst_unused:UNUSED_PAD src0_sel:BYTE_0 src1_sel:DWORD
	v_sub_u16_sdwa v35, v97, v11 dst_sel:DWORD dst_unused:UNUSED_PAD src0_sel:DWORD src1_sel:BYTE_1
	v_lshrrev_b16_e32 v35, 1, v35
	v_and_b32_e32 v35, 0x7f, v35
	v_add_u16_sdwa v11, v35, v11 dst_sel:DWORD dst_unused:UNUSED_PAD src0_sel:DWORD src1_sel:BYTE_1
	v_lshrrev_b16_e32 v11, 5, v11
	v_mul_lo_u16_e32 v11, 49, v11
	v_sub_u16_e32 v11, v97, v11
	v_and_b32_e32 v11, 0xff, v11
	v_mul_u32_u24_e32 v35, 6, v11
	v_mul_f32_e32 v65, v65, v135
	v_lshlrev_b32_e32 v35, 3, v35
	v_fmac_f32_e32 v65, v89, v134
	v_fmac_f32_e32 v88, v85, v126
	global_load_dwordx4 v[124:127], v35, s[4:5] offset:368
	global_load_dwordx4 v[128:131], v35, s[4:5] offset:352
	;; [unrolled: 1-line block ×3, first 2 shown]
	s_movk_i32 s18, 0x4e5f
	v_lshl_add_u32 v11, v11, 2, 0
	s_waitcnt vmcnt(2)
	v_mul_f32_e32 v63, v0, v127
	s_waitcnt vmcnt(1)
	v_mul_f32_e32 v59, v2, v131
	;; [unrolled: 2-line block ×3, first 2 shown]
	v_fma_f32 v52, v57, v132, -v35
	s_waitcnt lgkmcnt(6)
	v_mul_f32_e32 v35, v50, v135
	v_mul_f32_e32 v54, v57, v133
	v_fma_f32 v56, v4, v134, -v35
	v_mul_f32_e32 v57, v4, v135
	v_mul_f32_e32 v4, v81, v129
	v_fmac_f32_e32 v57, v50, v134
	v_fma_f32 v50, v55, v128, -v4
	s_waitcnt lgkmcnt(5)
	v_mul_f32_e32 v4, v48, v131
	v_fma_f32 v58, v2, v130, -v4
	v_mul_f32_e32 v2, v79, v125
	v_fma_f32 v61, v53, v124, -v2
	s_waitcnt lgkmcnt(4)
	v_mul_f32_e32 v2, v6, v127
	v_fma_f32 v62, v0, v126, -v2
	v_mul_u32_u24_sdwa v0, v99, s18 dst_sel:DWORD dst_unused:UNUSED_PAD src0_sel:WORD_0 src1_sel:DWORD
	v_sub_u16_sdwa v2, v99, v0 dst_sel:DWORD dst_unused:UNUSED_PAD src0_sel:DWORD src1_sel:WORD_1
	v_lshrrev_b16_e32 v2, 1, v2
	v_add_u16_sdwa v0, v2, v0 dst_sel:DWORD dst_unused:UNUSED_PAD src0_sel:DWORD src1_sel:WORD_1
	v_lshrrev_b16_e32 v0, 5, v0
	v_mul_lo_u16_e32 v0, 49, v0
	v_sub_u16_e32 v35, v99, v0
	v_mul_u32_u24_e32 v0, 6, v35
	v_mul_f32_e32 v55, v55, v129
	v_lshlrev_b32_e32 v0, 3, v0
	v_fmac_f32_e32 v54, v83, v132
	v_fmac_f32_e32 v55, v81, v128
	;; [unrolled: 1-line block ×4, first 2 shown]
	global_load_dwordx4 v[130:133], v0, s[4:5] offset:368
	global_load_dwordx4 v[126:129], v0, s[4:5] offset:352
	;; [unrolled: 1-line block ×3, first 2 shown]
	v_mul_f32_e32 v53, v53, v125
	v_fmac_f32_e32 v53, v79, v124
	s_waitcnt vmcnt(1)
	v_mul_f32_e32 v125, v30, v127
	s_waitcnt vmcnt(0) lgkmcnt(3)
	v_mul_f32_e32 v0, v46, v147
	v_fma_f32 v96, v36, v146, -v0
	v_mul_f32_e32 v0, v51, v149
	v_fma_f32 v99, v5, v148, -v0
	s_waitcnt lgkmcnt(2)
	v_mul_f32_e32 v0, v42, v127
	v_fma_f32 v124, v30, v126, -v0
	v_mul_f32_e32 v0, v49, v129
	v_fmac_f32_e32 v125, v42, v126
	v_fma_f32 v126, v3, v128, -v0
	v_mul_f32_e32 v127, v3, v129
	s_waitcnt lgkmcnt(1)
	v_mul_f32_e32 v0, v38, v131
	v_fmac_f32_e32 v127, v49, v128
	v_fma_f32 v128, v26, v130, -v0
	v_mul_f32_e32 v129, v26, v131
	v_mul_f32_e32 v0, v7, v133
	v_fmac_f32_e32 v129, v38, v130
	v_fma_f32 v130, v1, v132, -v0
	v_mul_u32_u24_sdwa v0, v141, s18 dst_sel:DWORD dst_unused:UNUSED_PAD src0_sel:WORD_0 src1_sel:DWORD
	v_mul_f32_e32 v131, v1, v133
	v_sub_u16_sdwa v1, v141, v0 dst_sel:DWORD dst_unused:UNUSED_PAD src0_sel:DWORD src1_sel:WORD_1
	v_lshrrev_b16_e32 v1, 1, v1
	v_add_u16_sdwa v0, v1, v0 dst_sel:DWORD dst_unused:UNUSED_PAD src0_sel:DWORD src1_sel:WORD_1
	v_lshrrev_b16_e32 v0, 5, v0
	v_mul_lo_u16_e32 v0, 49, v0
	v_sub_u16_e32 v26, v141, v0
	v_mul_u32_u24_e32 v0, 6, v26
	v_mul_f32_e32 v97, v36, v147
	v_mul_f32_e32 v123, v5, v149
	v_lshlrev_b32_e32 v30, 3, v0
	v_fmac_f32_e32 v97, v46, v146
	v_fmac_f32_e32 v123, v51, v148
	;; [unrolled: 1-line block ×3, first 2 shown]
	global_load_dwordx4 v[0:3], v30, s[4:5] offset:368
	global_load_dwordx4 v[4:7], v30, s[4:5] offset:352
	;; [unrolled: 1-line block ×3, first 2 shown]
	v_lshl_add_u32 v26, v26, 2, 0
	s_waitcnt lgkmcnt(0)
	; wave barrier
	s_waitcnt vmcnt(2) lgkmcnt(0)
	v_mul_f32_e32 v143, v27, v1
	s_waitcnt vmcnt(1)
	v_mul_f32_e32 v138, v31, v5
	s_waitcnt vmcnt(0)
	v_mul_f32_e32 v30, v47, v147
	v_fma_f32 v132, v37, v146, -v30
	v_mul_f32_e32 v30, v44, v149
	v_fma_f32 v134, v34, v148, -v30
	;; [unrolled: 2-line block ×3, first 2 shown]
	v_fmac_f32_e32 v138, v43, v4
	v_mul_f32_e32 v4, v40, v7
	v_fma_f32 v139, v28, v6, -v4
	v_mul_f32_e32 v4, v39, v1
	v_fma_f32 v142, v27, v0, -v4
	v_fmac_f32_e32 v143, v39, v0
	v_mul_f32_e32 v0, v98, v3
	v_mul_f32_e32 v140, v28, v7
	v_fma_f32 v144, v109, v2, -v0
	v_add_f32_e32 v0, v111, v120
	v_add_f32_e32 v1, v113, v122
	;; [unrolled: 1-line block ×4, first 2 shown]
	v_mul_f32_e32 v135, v34, v149
	v_fmac_f32_e32 v140, v40, v6
	v_mul_f32_e32 v109, v109, v3
	v_sub_f32_e32 v6, v102, v115
	v_sub_f32_e32 v7, v103, v116
	v_add_f32_e32 v27, v100, v45
	v_add_f32_e32 v28, v101, v104
	v_sub_f32_e32 v30, v45, v100
	v_sub_f32_e32 v31, v104, v101
	v_add_f32_e32 v34, v4, v0
	v_add_f32_e32 v36, v5, v1
	v_mul_f32_e32 v133, v37, v147
	v_fmac_f32_e32 v109, v98, v2
	v_sub_f32_e32 v2, v111, v120
	v_sub_f32_e32 v3, v113, v122
	;; [unrolled: 1-line block ×8, first 2 shown]
	v_add_f32_e32 v39, v30, v6
	v_sub_f32_e32 v42, v30, v6
	v_sub_f32_e32 v43, v31, v7
	v_add_f32_e32 v27, v27, v34
	v_add_f32_e32 v28, v28, v36
	v_fmac_f32_e32 v135, v44, v148
	v_add_f32_e32 v40, v31, v7
	v_sub_f32_e32 v30, v2, v30
	v_sub_f32_e32 v44, v3, v31
	;; [unrolled: 1-line block ×4, first 2 shown]
	v_add_f32_e32 v2, v39, v2
	v_add_f32_e32 v34, v18, v27
	;; [unrolled: 1-line block ×3, first 2 shown]
	v_mul_f32_e32 v0, 0x3f4a47b2, v0
	v_mul_f32_e32 v1, 0x3f4a47b2, v1
	;; [unrolled: 1-line block ×6, first 2 shown]
	v_add_f32_e32 v3, v40, v3
	v_mul_f32_e32 v40, 0x3f5ff5aa, v6
	v_mul_f32_e32 v42, 0x3f5ff5aa, v7
	v_fmamk_f32 v27, v27, 0xbf955555, v34
	v_fmamk_f32 v28, v28, 0xbf955555, v31
	v_fma_f32 v18, v37, s12, -v18
	v_fma_f32 v32, v38, s12, -v32
	;; [unrolled: 1-line block ×3, first 2 shown]
	v_fmac_f32_e32 v0, 0x3d64c772, v4
	v_fma_f32 v4, v38, s13, -v1
	v_fmac_f32_e32 v1, 0x3d64c772, v5
	v_fma_f32 v5, v6, s2, -v36
	;; [unrolled: 2-line block ×4, first 2 shown]
	v_fma_f32 v30, v44, s9, -v42
	v_add_f32_e32 v0, v0, v27
	v_add_f32_e32 v1, v1, v28
	;; [unrolled: 1-line block ×4, first 2 shown]
	v_fmac_f32_e32 v36, 0x3ee1c552, v2
	v_fmac_f32_e32 v39, 0x3ee1c552, v3
	;; [unrolled: 1-line block ×5, first 2 shown]
	v_add_f32_e32 v27, v37, v27
	v_add_f32_e32 v4, v4, v28
	v_fmac_f32_e32 v7, 0x3ee1c552, v2
	v_fmac_f32_e32 v30, 0x3ee1c552, v3
	v_add_f32_e32 v81, v39, v0
	v_sub_f32_e32 v49, v1, v36
	v_sub_f32_e32 v43, v18, v6
	v_add_f32_e32 v47, v5, v32
	v_add_f32_e32 v42, v6, v18
	v_sub_f32_e32 v46, v32, v5
	v_sub_f32_e32 v32, v0, v39
	v_add_f32_e32 v0, v36, v1
	v_add_f32_e32 v1, v41, v90
	;; [unrolled: 1-line block ×6, first 2 shown]
	v_sub_f32_e32 v45, v4, v7
	v_sub_f32_e32 v79, v27, v30
	v_add_f32_e32 v48, v7, v4
	v_sub_f32_e32 v3, v41, v90
	v_sub_f32_e32 v4, v70, v73
	;; [unrolled: 1-line block ×4, first 2 shown]
	v_add_f32_e32 v27, v76, v77
	v_add_f32_e32 v28, v68, v75
	v_sub_f32_e32 v30, v77, v76
	v_sub_f32_e32 v36, v75, v68
	v_add_f32_e32 v37, v5, v1
	v_add_f32_e32 v38, v6, v2
	v_sub_f32_e32 v39, v5, v1
	v_sub_f32_e32 v44, v6, v2
	;; [unrolled: 1-line block ×6, first 2 shown]
	v_add_f32_e32 v1, v30, v7
	v_add_f32_e32 v41, v36, v18
	v_sub_f32_e32 v66, v30, v7
	v_sub_f32_e32 v68, v36, v18
	;; [unrolled: 1-line block ×4, first 2 shown]
	v_add_f32_e32 v27, v27, v37
	v_add_f32_e32 v28, v28, v38
	v_sub_f32_e32 v30, v3, v30
	v_sub_f32_e32 v36, v4, v36
	v_add_f32_e32 v3, v1, v3
	v_add_f32_e32 v4, v41, v4
	v_add_f32_e32 v41, v19, v27
	v_add_f32_e32 v1, v33, v28
	v_mul_f32_e32 v19, 0x3f4a47b2, v51
	v_mul_f32_e32 v2, 0x3f4a47b2, v2
	;; [unrolled: 1-line block ×8, first 2 shown]
	v_fmamk_f32 v27, v27, 0xbf955555, v41
	v_fmamk_f32 v28, v28, 0xbf955555, v1
	v_fma_f32 v33, v39, s12, -v33
	v_fma_f32 v37, v44, s12, -v37
	;; [unrolled: 1-line block ×3, first 2 shown]
	v_fmac_f32_e32 v19, 0x3d64c772, v5
	v_fma_f32 v5, v44, s13, -v2
	v_fmac_f32_e32 v2, 0x3d64c772, v6
	v_fma_f32 v6, v7, s2, -v38
	;; [unrolled: 2-line block ×4, first 2 shown]
	v_fma_f32 v30, v36, s9, -v68
	v_add_f32_e32 v19, v19, v27
	v_add_f32_e32 v36, v2, v28
	;; [unrolled: 1-line block ×6, first 2 shown]
	v_fmac_f32_e32 v38, 0x3ee1c552, v3
	v_fmac_f32_e32 v51, 0x3ee1c552, v4
	;; [unrolled: 1-line block ×6, first 2 shown]
	v_add_f32_e32 v72, v51, v19
	v_sub_f32_e32 v2, v36, v38
	v_add_f32_e32 v74, v30, v27
	v_sub_f32_e32 v3, v28, v18
	v_sub_f32_e32 v33, v44, v7
	v_add_f32_e32 v4, v6, v37
	v_add_f32_e32 v68, v7, v44
	v_sub_f32_e32 v5, v37, v6
	v_sub_f32_e32 v66, v27, v30
	v_add_f32_e32 v6, v18, v28
	v_sub_f32_e32 v73, v19, v51
	v_add_f32_e32 v7, v38, v36
	v_add_f32_e32 v18, v94, v91
	;; [unrolled: 1-line block ×5, first 2 shown]
	v_sub_f32_e32 v27, v94, v91
	v_sub_f32_e32 v28, v105, v119
	;; [unrolled: 1-line block ×4, first 2 shown]
	v_add_f32_e32 v39, v107, v93
	v_add_f32_e32 v44, v108, v114
	v_sub_f32_e32 v51, v93, v107
	v_sub_f32_e32 v70, v114, v108
	v_add_f32_e32 v75, v30, v18
	v_add_f32_e32 v76, v36, v19
	v_sub_f32_e32 v77, v30, v18
	v_sub_f32_e32 v83, v36, v19
	v_sub_f32_e32 v18, v18, v39
	v_sub_f32_e32 v19, v19, v44
	v_sub_f32_e32 v30, v39, v30
	v_sub_f32_e32 v36, v44, v36
	v_add_f32_e32 v85, v51, v37
	v_add_f32_e32 v89, v70, v38
	v_sub_f32_e32 v90, v51, v37
	v_sub_f32_e32 v91, v70, v38
	v_sub_f32_e32 v37, v37, v27
	v_sub_f32_e32 v38, v38, v28
	v_add_f32_e32 v39, v39, v75
	v_add_f32_e32 v44, v44, v76
	v_sub_f32_e32 v51, v27, v51
	v_sub_f32_e32 v70, v28, v70
	v_add_f32_e32 v27, v85, v27
	v_add_f32_e32 v28, v89, v28
	;; [unrolled: 1-line block ×4, first 2 shown]
	v_mul_f32_e32 v18, 0x3f4a47b2, v18
	v_mul_f32_e32 v19, 0x3f4a47b2, v19
	;; [unrolled: 1-line block ×8, first 2 shown]
	v_fmamk_f32 v39, v39, 0xbf955555, v75
	v_fmamk_f32 v44, v44, 0xbf955555, v14
	v_fma_f32 v24, v77, s12, -v24
	v_fma_f32 v76, v83, s12, -v76
	;; [unrolled: 1-line block ×3, first 2 shown]
	v_fmac_f32_e32 v18, 0x3d64c772, v30
	v_fma_f32 v30, v83, s13, -v19
	v_fmac_f32_e32 v19, 0x3d64c772, v36
	v_fma_f32 v36, v37, s2, -v92
	;; [unrolled: 2-line block ×3, first 2 shown]
	v_fma_f32 v38, v51, s9, -v85
	v_fma_f32 v51, v70, s9, -v90
	v_fmac_f32_e32 v89, 0x3eae86e6, v70
	v_add_f32_e32 v70, v18, v39
	v_add_f32_e32 v85, v24, v39
	;; [unrolled: 1-line block ×4, first 2 shown]
	v_fmac_f32_e32 v36, 0x3ee1c552, v27
	v_fmac_f32_e32 v37, 0x3ee1c552, v28
	;; [unrolled: 1-line block ×3, first 2 shown]
	v_add_f32_e32 v91, v19, v44
	v_add_f32_e32 v30, v30, v44
	v_fmac_f32_e32 v92, 0x3ee1c552, v27
	v_fmac_f32_e32 v89, 0x3ee1c552, v28
	;; [unrolled: 1-line block ×3, first 2 shown]
	v_add_f32_e32 v76, v51, v39
	v_sub_f32_e32 v83, v85, v37
	v_add_f32_e32 v24, v36, v93
	v_add_f32_e32 v77, v37, v85
	v_sub_f32_e32 v27, v93, v36
	v_sub_f32_e32 v85, v39, v51
	v_add_f32_e32 v36, v64, v78
	v_add_f32_e32 v37, v67, v88
	;; [unrolled: 1-line block ×5, first 2 shown]
	v_sub_f32_e32 v19, v30, v38
	v_add_f32_e32 v28, v38, v30
	v_sub_f32_e32 v89, v70, v89
	v_sub_f32_e32 v38, v64, v78
	;; [unrolled: 1-line block ×4, first 2 shown]
	v_add_f32_e32 v67, v71, v80
	v_add_f32_e32 v69, v82, v84
	v_sub_f32_e32 v70, v80, v71
	v_add_f32_e32 v78, v44, v36
	v_add_f32_e32 v80, v51, v37
	v_sub_f32_e32 v18, v91, v92
	v_add_f32_e32 v30, v92, v91
	v_sub_f32_e32 v65, v65, v87
	v_sub_f32_e32 v71, v84, v82
	;; [unrolled: 1-line block ×8, first 2 shown]
	v_add_f32_e32 v86, v70, v64
	v_sub_f32_e32 v88, v70, v64
	v_sub_f32_e32 v92, v64, v38
	v_add_f32_e32 v67, v67, v78
	v_add_f32_e32 v69, v69, v80
	;; [unrolled: 1-line block ×3, first 2 shown]
	v_sub_f32_e32 v91, v71, v65
	v_sub_f32_e32 v70, v38, v70
	v_sub_f32_e32 v65, v65, v39
	v_add_f32_e32 v38, v86, v38
	v_add_f32_e32 v64, v15, v67
	;; [unrolled: 1-line block ×3, first 2 shown]
	v_mul_f32_e32 v25, 0x3f4a47b2, v36
	v_mul_f32_e32 v36, 0x3f4a47b2, v37
	;; [unrolled: 1-line block ×6, first 2 shown]
	v_sub_f32_e32 v71, v39, v71
	v_add_f32_e32 v39, v87, v39
	v_mul_f32_e32 v87, 0xbf08b237, v91
	v_mul_f32_e32 v88, 0x3f5ff5aa, v65
	v_fmamk_f32 v69, v69, 0xbf955555, v15
	v_fma_f32 v37, v82, s12, -v37
	v_fma_f32 v78, v84, s12, -v78
	;; [unrolled: 1-line block ×3, first 2 shown]
	v_fmac_f32_e32 v25, 0x3d64c772, v44
	v_fma_f32 v44, v84, s13, -v36
	v_fmac_f32_e32 v36, 0x3d64c772, v51
	v_fma_f32 v51, v92, s2, -v86
	;; [unrolled: 2-line block ×3, first 2 shown]
	v_fmamk_f32 v67, v67, 0xbf955555, v64
	v_fma_f32 v84, v65, s2, -v87
	v_fmac_f32_e32 v87, 0x3eae86e6, v71
	v_fma_f32 v71, v71, s9, -v88
	v_add_f32_e32 v78, v78, v69
	v_add_f32_e32 v44, v44, v69
	v_fmac_f32_e32 v51, 0x3ee1c552, v38
	v_fmac_f32_e32 v70, 0x3ee1c552, v38
	v_add_f32_e32 v91, v36, v69
	v_add_f32_e32 v92, v37, v67
	v_fmac_f32_e32 v86, 0x3ee1c552, v38
	v_fmac_f32_e32 v87, 0x3ee1c552, v39
	;; [unrolled: 1-line block ×4, first 2 shown]
	v_sub_f32_e32 v36, v44, v70
	v_add_f32_e32 v37, v51, v78
	v_sub_f32_e32 v38, v78, v51
	v_add_f32_e32 v39, v70, v44
	v_add_f32_e32 v51, v52, v62
	;; [unrolled: 1-line block ×3, first 2 shown]
	v_sub_f32_e32 v52, v52, v62
	v_sub_f32_e32 v54, v54, v63
	v_add_f32_e32 v62, v56, v61
	v_add_f32_e32 v63, v57, v53
	;; [unrolled: 1-line block ×4, first 2 shown]
	v_sub_f32_e32 v56, v56, v61
	v_sub_f32_e32 v53, v57, v53
	v_add_f32_e32 v57, v50, v58
	v_add_f32_e32 v61, v55, v59
	v_sub_f32_e32 v50, v58, v50
	v_sub_f32_e32 v55, v59, v55
	v_add_f32_e32 v58, v62, v51
	v_add_f32_e32 v59, v63, v70
	;; [unrolled: 1-line block ×3, first 2 shown]
	v_sub_f32_e32 v25, v91, v86
	v_add_f32_e32 v65, v71, v82
	v_sub_f32_e32 v69, v92, v84
	v_add_f32_e32 v67, v84, v92
	v_sub_f32_e32 v71, v82, v71
	v_sub_f32_e32 v78, v88, v87
	v_add_f32_e32 v44, v86, v91
	v_sub_f32_e32 v82, v62, v51
	v_sub_f32_e32 v84, v63, v70
	;; [unrolled: 1-line block ×6, first 2 shown]
	v_add_f32_e32 v62, v50, v56
	v_add_f32_e32 v87, v55, v53
	v_sub_f32_e32 v88, v50, v56
	v_sub_f32_e32 v91, v55, v53
	;; [unrolled: 1-line block ×3, first 2 shown]
	v_add_f32_e32 v57, v57, v58
	v_add_f32_e32 v58, v61, v59
	v_sub_f32_e32 v50, v52, v50
	v_sub_f32_e32 v55, v54, v55
	;; [unrolled: 1-line block ×3, first 2 shown]
	v_add_f32_e32 v52, v62, v52
	v_add_f32_e32 v54, v87, v54
	;; [unrolled: 1-line block ×4, first 2 shown]
	v_mul_f32_e32 v22, 0x3f4a47b2, v51
	v_mul_f32_e32 v51, 0x3f4a47b2, v70
	;; [unrolled: 1-line block ×8, first 2 shown]
	v_fmamk_f32 v57, v57, 0xbf955555, v62
	v_fmamk_f32 v58, v58, 0xbf955555, v12
	v_fma_f32 v59, v82, s12, -v59
	v_fma_f32 v61, v84, s12, -v61
	;; [unrolled: 1-line block ×3, first 2 shown]
	v_fmac_f32_e32 v22, 0x3d64c772, v86
	v_fma_f32 v56, v56, s2, -v70
	v_fma_f32 v53, v53, s2, -v87
	v_fmac_f32_e32 v87, 0x3eae86e6, v55
	v_fma_f32 v55, v55, s9, -v91
	v_fma_f32 v84, v84, s13, -v51
	v_fmac_f32_e32 v51, 0x3d64c772, v63
	v_fmac_f32_e32 v70, 0x3eae86e6, v50
	v_fma_f32 v88, v50, s9, -v88
	v_add_f32_e32 v92, v22, v57
	v_add_f32_e32 v59, v59, v57
	;; [unrolled: 1-line block ×4, first 2 shown]
	v_fmac_f32_e32 v56, 0x3ee1c552, v52
	v_fmac_f32_e32 v53, 0x3ee1c552, v54
	;; [unrolled: 1-line block ×3, first 2 shown]
	v_add_f32_e32 v93, v51, v58
	v_add_f32_e32 v58, v84, v58
	v_fmac_f32_e32 v70, 0x3ee1c552, v52
	v_fmac_f32_e32 v87, 0x3ee1c552, v54
	;; [unrolled: 1-line block ×3, first 2 shown]
	v_add_f32_e32 v63, v55, v57
	v_sub_f32_e32 v84, v59, v53
	v_add_f32_e32 v51, v56, v61
	v_add_f32_e32 v82, v53, v59
	v_sub_f32_e32 v52, v61, v56
	v_sub_f32_e32 v86, v57, v55
	v_add_f32_e32 v55, v96, v130
	v_add_f32_e32 v56, v97, v131
	;; [unrolled: 1-line block ×5, first 2 shown]
	v_sub_f32_e32 v22, v93, v70
	v_sub_f32_e32 v50, v58, v88
	v_add_f32_e32 v53, v88, v58
	v_sub_f32_e32 v87, v92, v87
	v_add_f32_e32 v54, v70, v93
	v_sub_f32_e32 v57, v96, v130
	v_sub_f32_e32 v58, v97, v131
	v_sub_f32_e32 v70, v99, v128
	v_sub_f32_e32 v88, v123, v129
	v_add_f32_e32 v92, v124, v126
	v_add_f32_e32 v93, v125, v127
	v_sub_f32_e32 v94, v126, v124
	v_sub_f32_e32 v95, v127, v125
	v_add_f32_e32 v96, v59, v55
	v_add_f32_e32 v97, v61, v56
	v_sub_f32_e32 v98, v59, v55
	v_sub_f32_e32 v99, v61, v56
	;; [unrolled: 1-line block ×6, first 2 shown]
	v_add_f32_e32 v100, v94, v70
	v_sub_f32_e32 v102, v94, v70
	v_sub_f32_e32 v103, v95, v88
	;; [unrolled: 1-line block ×3, first 2 shown]
	v_add_f32_e32 v92, v92, v96
	v_add_f32_e32 v93, v93, v97
	;; [unrolled: 1-line block ×3, first 2 shown]
	v_sub_f32_e32 v94, v57, v94
	v_sub_f32_e32 v104, v88, v58
	v_add_f32_e32 v57, v100, v57
	v_add_f32_e32 v88, v13, v92
	;; [unrolled: 1-line block ×3, first 2 shown]
	v_mul_f32_e32 v23, 0x3f4a47b2, v55
	v_mul_f32_e32 v55, 0x3f4a47b2, v56
	;; [unrolled: 1-line block ×7, first 2 shown]
	v_sub_f32_e32 v95, v58, v95
	v_add_f32_e32 v58, v101, v58
	v_mul_f32_e32 v101, 0x3f5ff5aa, v104
	v_fmamk_f32 v92, v92, 0xbf955555, v88
	v_fmamk_f32 v93, v93, 0xbf955555, v13
	v_fma_f32 v56, v98, s12, -v56
	v_fma_f32 v96, v99, s12, -v96
	;; [unrolled: 1-line block ×3, first 2 shown]
	v_fmac_f32_e32 v23, 0x3d64c772, v59
	v_fma_f32 v59, v99, s13, -v55
	v_fmac_f32_e32 v55, 0x3d64c772, v61
	v_fma_f32 v61, v70, s2, -v100
	;; [unrolled: 2-line block ×3, first 2 shown]
	v_fma_f32 v94, v94, s9, -v97
	v_fmac_f32_e32 v102, 0x3eae86e6, v95
	v_fma_f32 v99, v95, s9, -v101
	v_add_f32_e32 v104, v55, v93
	v_add_f32_e32 v105, v56, v92
	;; [unrolled: 1-line block ×4, first 2 shown]
	v_fmac_f32_e32 v100, 0x3ee1c552, v57
	v_fmac_f32_e32 v61, 0x3ee1c552, v57
	;; [unrolled: 1-line block ×4, first 2 shown]
	v_add_f32_e32 v103, v23, v92
	v_add_f32_e32 v92, v98, v92
	v_fmac_f32_e32 v102, 0x3ee1c552, v58
	v_fmac_f32_e32 v99, 0x3ee1c552, v58
	v_sub_f32_e32 v23, v104, v100
	v_sub_f32_e32 v55, v59, v94
	;; [unrolled: 1-line block ×3, first 2 shown]
	v_add_f32_e32 v56, v61, v106
	v_add_f32_e32 v96, v70, v105
	v_sub_f32_e32 v57, v106, v61
	v_add_f32_e32 v58, v94, v59
	v_add_f32_e32 v59, v100, v104
	;; [unrolled: 1-line block ×8, first 2 shown]
	v_sub_f32_e32 v98, v92, v99
	v_sub_f32_e32 v99, v103, v102
	;; [unrolled: 1-line block ×5, first 2 shown]
	v_add_f32_e32 v104, v136, v139
	v_add_f32_e32 v105, v138, v140
	v_sub_f32_e32 v106, v139, v136
	v_add_f32_e32 v108, v94, v61
	v_add_f32_e32 v109, v100, v70
	v_sub_f32_e32 v103, v135, v143
	v_sub_f32_e32 v107, v140, v138
	;; [unrolled: 1-line block ×8, first 2 shown]
	v_add_f32_e32 v100, v106, v102
	v_sub_f32_e32 v116, v106, v102
	v_sub_f32_e32 v102, v102, v92
	v_add_f32_e32 v104, v104, v108
	v_add_f32_e32 v105, v105, v109
	;; [unrolled: 1-line block ×3, first 2 shown]
	v_sub_f32_e32 v117, v107, v103
	v_sub_f32_e32 v106, v92, v106
	;; [unrolled: 1-line block ×3, first 2 shown]
	v_add_f32_e32 v92, v100, v92
	v_add_f32_e32 v100, v10, v104
	;; [unrolled: 1-line block ×3, first 2 shown]
	v_mul_f32_e32 v16, 0x3f4a47b2, v61
	v_mul_f32_e32 v61, 0x3f4a47b2, v70
	;; [unrolled: 1-line block ×5, first 2 shown]
	v_sub_f32_e32 v107, v93, v107
	v_add_f32_e32 v93, v115, v93
	v_mul_f32_e32 v108, 0x3d64c772, v114
	v_mul_f32_e32 v115, 0xbf08b237, v117
	v_mul_f32_e32 v117, 0x3f5ff5aa, v103
	v_fmamk_f32 v105, v105, 0xbf955555, v10
	v_fma_f32 v70, v111, s12, -v70
	v_fma_f32 v111, v111, s13, -v16
	v_fmac_f32_e32 v16, 0x3d64c772, v94
	v_fma_f32 v94, v113, s13, -v61
	v_fmac_f32_e32 v61, 0x3d64c772, v114
	;; [unrolled: 2-line block ×3, first 2 shown]
	v_fma_f32 v114, v106, s9, -v116
	v_fmamk_f32 v104, v104, 0xbf955555, v100
	v_fma_f32 v108, v113, s12, -v108
	v_fma_f32 v113, v103, s2, -v115
	v_fmac_f32_e32 v115, 0x3eae86e6, v107
	v_fma_f32 v106, v107, s9, -v117
	v_add_f32_e32 v117, v61, v105
	v_add_f32_e32 v94, v94, v105
	v_fmac_f32_e32 v109, 0x3ee1c552, v92
	v_fmac_f32_e32 v114, 0x3ee1c552, v92
	v_add_f32_e32 v116, v16, v104
	v_add_f32_e32 v118, v70, v104
	v_add_f32_e32 v108, v108, v105
	v_add_f32_e32 v111, v111, v104
	v_fmac_f32_e32 v115, 0x3ee1c552, v93
	v_fmac_f32_e32 v102, 0x3ee1c552, v92
	;; [unrolled: 1-line block ×4, first 2 shown]
	v_sub_f32_e32 v16, v117, v109
	v_sub_f32_e32 v61, v94, v114
	v_add_f32_e32 v93, v114, v94
	v_add_f32_e32 v94, v109, v117
	v_lshl_add_u32 v117, v35, 2, 0
	v_add_f32_e32 v107, v115, v116
	v_add_f32_e32 v103, v106, v111
	v_sub_f32_e32 v105, v118, v113
	v_add_f32_e32 v70, v102, v108
	v_add_f32_e32 v104, v113, v118
	v_sub_f32_e32 v92, v108, v102
	v_sub_f32_e32 v106, v111, v106
	;; [unrolled: 1-line block ×3, first 2 shown]
	v_add_u32_e32 v111, 0x800, v29
	v_add_u32_e32 v113, 0xc00, v29
	;; [unrolled: 1-line block ×7, first 2 shown]
	ds_write2_b32 v164, v34, v81 offset1:49
	ds_write2_b32 v164, v40, v43 offset0:98 offset1:147
	ds_write2_b32 v164, v42, v79 offset0:196 offset1:245
	;; [unrolled: 1-line block ×9, first 2 shown]
	ds_write_b32 v29, v89 offset:3920
	ds_write2_b32 v114, v64, v80 offset0:5 offset1:54
	ds_write2_b32 v114, v65, v69 offset0:103 offset1:152
	ds_write2_b32 v114, v67, v71 offset0:201 offset1:250
	ds_write_b32 v17, v78 offset:5292
	ds_write2_b32 v115, v62, v91 offset0:92 offset1:141
	ds_write2_b32 v115, v63, v84 offset0:190 offset1:239
	ds_write2_b32 v116, v82, v86 offset0:32 offset1:81
	ds_write_b32 v11, v87 offset:6664
	ds_write2_b32 v118, v88, v101 offset0:179 offset1:228
	ds_write2_b32 v119, v95, v97 offset0:21 offset1:70
	ds_write2_b32 v119, v96, v98 offset0:119 offset1:168
	ds_write_b32 v117, v99 offset:8036
	v_add_u32_e32 v95, 0x2000, v26
	ds_write2_b32 v95, v100, v107 offset0:10 offset1:59
	ds_write2_b32 v95, v103, v105 offset0:108 offset1:157
	;; [unrolled: 1-line block ×3, first 2 shown]
	ds_write_b32 v26, v102 offset:9408
	s_waitcnt lgkmcnt(0)
	; wave barrier
	s_waitcnt lgkmcnt(0)
	ds_read2_b32 v[32:33], v164 offset1:49
	ds_read2_b32 v[62:63], v137 offset0:38 offset1:87
	ds_read2_b32 v[40:41], v121 offset0:174 offset1:223
	;; [unrolled: 1-line block ×23, first 2 shown]
	ds_read_b32 v71, v164 offset:9408
	s_waitcnt lgkmcnt(0)
	; wave barrier
	s_waitcnt lgkmcnt(0)
	ds_write2_b32 v164, v31, v49 offset1:49
	ds_write2_b32 v164, v45, v47 offset0:98 offset1:147
	ds_write2_b32 v164, v46, v48 offset0:196 offset1:245
	;; [unrolled: 1-line block ×9, first 2 shown]
	ds_write_b32 v29, v30 offset:3920
	ds_write2_b32 v114, v15, v25 offset0:5 offset1:54
	ds_write2_b32 v114, v36, v37 offset0:103 offset1:152
	ds_write2_b32 v114, v38, v39 offset0:201 offset1:250
	ds_write_b32 v17, v44 offset:5292
	ds_write2_b32 v115, v12, v22 offset0:92 offset1:141
	ds_write2_b32 v115, v50, v51 offset0:190 offset1:239
	ds_write2_b32 v116, v52, v53 offset0:32 offset1:81
	;; [unrolled: 4-line block ×4, first 2 shown]
	ds_write_b32 v26, v94 offset:9408
	s_waitcnt lgkmcnt(0)
	; wave barrier
	s_waitcnt lgkmcnt(0)
	s_and_saveexec_b64 s[18:19], vcc
	s_cbranch_execz .LBB0_15
; %bb.14:
	v_mul_u32_u24_e32 v0, 6, v141
	v_mov_b32_e32 v61, 0
	v_lshlrev_b32_e32 v14, 3, v0
	v_lshl_add_u64 v[10:11], s[4:5], 0, v[60:61]
	global_load_dwordx4 v[0:3], v14, s[4:5] offset:2688
	global_load_dwordx4 v[4:7], v14, s[4:5] offset:2720
	global_load_dwordx4 v[36:39], v[10:11], off offset:2688
	global_load_dwordx4 v[48:51], v[10:11], off offset:2720
	;; [unrolled: 1-line block ×3, first 2 shown]
	v_mul_lo_u32 v10, s15, v8
	v_mul_lo_u32 v9, s14, v9
	v_mad_u64_u32 v[12:13], s[14:15], s14, v8, 0
	v_mov_b32_e32 v8, 0xfffffeda
	v_mov_b32_e32 v15, 0xfffffdb4
	v_mad_u32_u24 v60, v141, 6, v8
	v_mov_b32_e32 v24, 0xfffffc8e
	s_mov_b32 s13, 0xbf112a8b
	v_lshl_add_u64 v[46:47], v[60:61], 3, s[4:5]
	v_mad_u32_u24 v60, v141, 6, v15
	v_mov_b32_e32 v25, 0xfffffb68
	v_mul_hi_u32 v16, v165, s13
	v_lshl_add_u64 v[44:45], v[60:61], 3, s[4:5]
	v_mad_u32_u24 v60, v141, 6, v24
	v_mov_b32_e32 v26, 0xfffffa42
	v_add3_u32 v13, v13, v9, v10
	v_lshrrev_b32_e32 v27, 8, v16
	v_lshl_add_u64 v[132:133], v[60:61], 3, s[4:5]
	v_mad_u32_u24 v60, v141, 6, v25
	v_lshl_add_u64 v[22:23], v[12:13], 3, s[10:11]
	v_mul_u32_u24_e32 v24, 0x157, v27
	v_lshl_add_u64 v[56:57], v[60:61], 3, s[4:5]
	v_mad_u32_u24 v60, v141, 6, v26
	ds_read2_b32 v[94:95], v121 offset0:76 offset1:125
	ds_read_b32 v103, v164 offset:9408
	ds_read2_b32 v[96:97], v168 offset0:130 offset1:179
	ds_read2_b32 v[104:105], v172 offset0:122 offset1:171
	;; [unrolled: 1-line block ×8, first 2 shown]
	ds_read2_b32 v[134:135], v164 offset1:49
	v_lshl_add_u64 v[120:121], v[20:21], 3, v[22:23]
	v_sub_u32_e32 v20, v165, v24
	v_lshl_add_u64 v[28:29], v[60:61], 3, s[4:5]
	global_load_dwordx4 v[8:11], v14, s[4:5] offset:2704
	s_nop 0
	global_load_dwordx4 v[12:15], v[46:47], off offset:2704
	global_load_dwordx4 v[16:19], v[46:47], off offset:2688
	v_lshlrev_b32_e32 v60, 3, v20
	global_load_dwordx4 v[20:23], v[28:29], off offset:2704
	global_load_dwordx4 v[24:27], v[28:29], off offset:2688
	s_nop 0
	global_load_dwordx4 v[28:31], v[28:29], off offset:2720
	s_waitcnt lgkmcnt(8)
	v_mov_b32_e32 v58, v97
	v_mov_b32_e32 v156, v65
	;; [unrolled: 1-line block ×3, first 2 shown]
	s_mov_b32 s4, s7
	s_mov_b32 s5, s6
	;; [unrolled: 1-line block ×6, first 2 shown]
	ds_read2_b32 v[136:137], v137 offset0:136 offset1:185
	s_waitcnt vmcnt(8) lgkmcnt(5)
	v_mul_f32_e32 v130, v36, v93
	v_mul_f32_e32 v59, v1, v95
	s_waitcnt vmcnt(7) lgkmcnt(4)
	v_mul_f32_e32 v122, v50, v52
	v_mul_f32_e32 v102, v37, v93
	;; [unrolled: 1-line block ×3, first 2 shown]
	s_waitcnt lgkmcnt(2)
	v_mul_f32_e32 v115, v39, v54
	v_mul_f32_e32 v97, v49, v97
	v_mov_b32_e32 v52, v49
	v_mov_b32_e32 v154, v49
	s_waitcnt vmcnt(6)
	v_mov_b32_e32 v49, v147
	v_fma_f32 v93, v69, v0, -v59
	v_fmac_f32_e32 v122, v42, v51
	v_fmac_f32_e32 v130, v63, v37
	v_mov_b32_e32 v59, v107
	v_mul_f32_e32 v141, v67, v147
	v_mul_f32_e32 v143, v146, v107
	v_fma_f32 v150, v63, v36, -v102
	v_fma_f32 v140, v40, v38, -v115
	;; [unrolled: 1-line block ×3, first 2 shown]
	v_add_f32_e32 v37, v130, v122
	v_pk_mul_f32 v[48:49], v[48:49], v[58:59]
	v_mov_b32_e32 v36, v65
	v_mov_b32_e32 v155, v146
	v_sub_f32_e32 v123, v140, v142
	v_pk_add_f32 v[140:141], v[140:141], v[142:143]
	v_pk_fma_f32 v[142:143], v[36:37], v[52:53], v[48:49]
	v_pk_fma_f32 v[48:49], v[156:157], v[154:155], v[48:49] neg_lo:[0,0,1] neg_hi:[0,0,1]
	v_mov_b32_e32 v36, v39
	v_mov_b32_e32 v146, v39
	;; [unrolled: 1-line block ×6, first 2 shown]
	v_pk_mul_f32 v[38:39], v[38:39], v[154:155]
	v_mov_b32_e32 v156, v40
	v_mov_b32_e32 v157, v34
	v_pk_fma_f32 v[158:159], v[40:41], v[36:37], v[38:39]
	v_pk_fma_f32 v[38:39], v[156:157], v[146:147], v[38:39] neg_lo:[0,0,1] neg_hi:[0,0,1]
	v_mov_b32_e32 v143, v49
	v_mov_b32_e32 v159, v39
	v_pk_add_f32 v[146:147], v[158:159], v[142:143]
	v_pk_add_f32 v[142:143], v[158:159], v[142:143] neg_lo:[0,1] neg_hi:[0,1]
	v_mul_f32_e32 v151, v34, v149
	v_mul_f32_e32 v153, v148, v138
	v_fma_f32 v152, v42, v50, -v111
	v_mov_b32_e32 v131, v143
	v_pk_add_f32 v[50:51], v[150:151], v[152:153]
	v_pk_add_f32 v[130:131], v[130:131], v[122:123] neg_lo:[0,1] neg_hi:[0,1]
	v_pk_add_f32 v[156:157], v[142:143], v[122:123]
	v_mov_b32_e32 v151, v152
	v_mov_b32_e32 v131, v157
	;; [unrolled: 1-line block ×5, first 2 shown]
	v_pk_add_f32 v[150:151], v[156:157], v[150:151] neg_lo:[0,1] neg_hi:[0,1]
	v_mov_b32_e32 v36, v39
	v_mov_b32_e32 v38, v49
	v_mov_b32_e32 v39, v146
	v_pk_add_f32 v[148:149], v[50:51], v[140:141]
	v_pk_add_f32 v[158:159], v[150:151], v[142:143]
	;; [unrolled: 1-line block ×3, first 2 shown]
	v_mov_b32_e32 v159, v151
	v_pk_add_f32 v[48:49], v[148:149], v[38:39]
	v_mov_b32_e32 v51, v149
	v_mov_b32_e32 v39, v146
	v_pk_add_f32 v[158:159], v[158:159], v[130:131]
	v_mov_b32_e32 v131, v143
	v_mov_b32_e32 v122, v150
	;; [unrolled: 1-line block ×3, first 2 shown]
	v_pk_add_f32 v[148:149], v[50:51], v[38:39] neg_lo:[0,1] neg_hi:[0,1]
	v_mov_b32_e32 v39, v37
	v_mov_b32_e32 v154, v32
	s_waitcnt lgkmcnt(1)
	v_mov_b32_e32 v155, v134
	v_pk_add_f32 v[152:153], v[150:151], v[142:143] neg_lo:[0,1] neg_hi:[0,1]
	v_pk_add_f32 v[160:161], v[38:39], v[140:141] neg_lo:[0,1] neg_hi:[0,1]
	;; [unrolled: 1-line block ×3, first 2 shown]
	v_pk_mul_f32 v[156:157], v[152:153], s[6:7]
	v_mov_b32_e32 v141, v146
	v_pk_mul_f32 v[146:147], v[38:39], s[4:5]
	v_pk_add_f32 v[154:155], v[154:155], v[48:49]
	v_pk_mul_f32 v[148:149], v[148:149], s[8:9]
	v_mov_b32_e32 v51, v37
	v_pk_mul_f32 v[36:37], v[160:161], s[14:15]
	v_mov_b32_e32 v143, v123
	v_mov_b32_e32 v131, v151
	v_lshl_add_u64 v[58:59], v[120:121], 0, v[60:61]
	v_pk_fma_f32 v[162:163], v[48:49], s[10:11], v[154:155] op_sel_hi:[1,0,1] neg_lo:[1,0,0] neg_hi:[1,0,0]
	v_pk_add_f32 v[38:39], v[140:141], v[50:51] neg_lo:[0,1] neg_hi:[0,1]
	v_pk_add_f32 v[48:49], v[142:143], v[130:131] neg_lo:[0,1] neg_hi:[0,1]
	v_mov_b32_e32 v51, v37
	v_mov_b32_e32 v122, v146
	;; [unrolled: 1-line block ×5, first 2 shown]
	v_pk_fma_f32 v[122:123], v[48:49], s[2:3], v[122:123] op_sel_hi:[1,0,1] neg_lo:[1,0,1] neg_hi:[1,0,1]
	v_add_co_u32_e32 v130, vcc, s3, v58
	v_pk_fma_f32 v[48:49], v[48:49], s[2:3], v[156:157] op_sel_hi:[1,0,1] neg_lo:[0,0,1] neg_hi:[0,0,1]
	v_pk_fma_f32 v[36:37], v[38:39], s[12:13], v[36:37] op_sel_hi:[1,0,1] neg_lo:[0,0,1] neg_hi:[0,0,1]
	v_mov_b32_e32 v50, v148
	v_addc_co_u32_e32 v131, vcc, 0, v59, vcc
	v_pk_fma_f32 v[48:49], v[158:159], s[0:1], v[48:49] op_sel_hi:[1,0,1]
	v_pk_add_f32 v[36:37], v[36:37], v[162:163]
	v_pk_fma_f32 v[50:51], v[38:39], s[12:13], v[50:51] op_sel_hi:[1,0,1] neg_lo:[1,0,1] neg_hi:[1,0,1]
	v_pk_add_f32 v[38:39], v[36:37], v[48:49] neg_lo:[0,1] neg_hi:[0,1]
	v_pk_add_f32 v[36:37], v[36:37], v[48:49]
	v_add_co_u32_e32 v142, vcc, s1, v58
	v_pk_add_f32 v[50:51], v[50:51], v[162:163]
	v_pk_fma_f32 v[122:123], v[158:159], s[0:1], v[122:123] op_sel_hi:[1,0,1]
	v_mov_b32_e32 v49, v37
	v_addc_co_u32_e32 v143, vcc, 0, v59, vcc
	v_mov_b32_e32 v37, v39
	s_movk_i32 s1, 0x3000
	v_pk_add_f32 v[140:141], v[50:51], v[122:123]
	v_pk_add_f32 v[50:51], v[50:51], v[122:123] neg_lo:[0,1] neg_hi:[0,1]
	global_store_dwordx2 v[142:143], v[36:37], off offset:2784
	v_add_co_u32_e32 v36, vcc, s1, v58
	v_mov_b32_e32 v122, v140
	v_mov_b32_e32 v123, v51
	;; [unrolled: 1-line block ×4, first 2 shown]
	v_addc_co_u32_e32 v37, vcc, 0, v59, vcc
	global_store_dwordx2 v[130:131], v[122:123], off offset:1392
	global_store_dwordx2 v[142:143], v[48:49], off offset:40
	;; [unrolled: 1-line block ×3, first 2 shown]
	v_pk_fma_f32 v[142:143], v[160:161], s[14:15], v[148:149]
	v_pk_fma_f32 v[146:147], v[152:153], s[6:7], v[146:147]
	ds_read2_b32 v[130:131], v171 offset0:206 offset1:255
	global_load_dwordx4 v[36:39], v[132:133], off offset:2720
	global_load_dwordx4 v[48:51], v[56:57], off offset:2688
	ds_read2_b32 v[140:141], v110 offset0:54 offset1:103
	ds_read2_b32 v[144:145], v145 offset0:100 offset1:149
	s_waitcnt vmcnt(7) lgkmcnt(3)
	v_mul_f32_e32 v32, v25, v136
	v_pk_add_f32 v[142:143], v[142:143], v[162:163]
	v_pk_fma_f32 v[146:147], v[158:159], s[0:1], v[146:147] op_sel_hi:[1,0,1]
	v_fma_f32 v149, v124, v24, -v32
	s_waitcnt vmcnt(6)
	v_mul_f32_e32 v32, v31, v53
	v_pk_add_f32 v[152:153], v[142:143], v[146:147]
	v_pk_add_f32 v[142:143], v[142:143], v[146:147] neg_lo:[0,1] neg_hi:[0,1]
	v_fma_f32 v151, v43, v30, -v32
	global_store_dwordx2 v[58:59], v[154:155], off
	v_mov_b32_e32 v154, v152
	v_mov_b32_e32 v155, v143
	s_movk_i32 s1, 0x4000
	v_add_u32_e32 v32, 49, v165
	global_store_dwordx2 v[58:59], v[154:155], off offset:2744
	v_add_co_u32_e32 v58, vcc, s1, v58
	v_mul_hi_u32 v34, v32, s13
	v_mov_b32_e32 v143, v153
	v_addc_co_u32_e32 v59, vcc, 0, v59, vcc
	v_lshrrev_b32_e32 v34, 8, v34
	v_mul_f32_e32 v146, v26, v55
	global_store_dwordx2 v[58:59], v[142:143], off offset:80
	v_mul_u32_u24_e32 v42, 0x157, v34
	v_mov_b32_e32 v142, v29
	v_mov_b32_e32 v143, v20
	s_waitcnt lgkmcnt(0)
	v_mov_b32_e32 v152, v144
	v_mov_b32_e32 v153, v140
	;; [unrolled: 1-line block ×6, first 2 shown]
	v_sub_u32_e32 v60, v32, v42
	v_mov_b32_e32 v58, v128
	v_mov_b32_e32 v59, v126
	v_pk_mul_f32 v[142:143], v[142:143], v[152:153]
	v_mov_b32_e32 v152, v28
	v_mov_b32_e32 v153, v21
	v_pk_mul_f32 v[52:53], v[54:55], v[52:53]
	v_mov_b32_e32 v54, v27
	v_mov_b32_e32 v55, v22
	;; [unrolled: 1-line block ×4, first 2 shown]
	v_pk_fma_f32 v[152:153], v[58:59], v[152:153], v[142:143]
	v_pk_mul_f32 v[154:155], v[54:55], v[138:139]
	v_pk_fma_f32 v[30:31], v[42:43], v[30:31], v[52:53]
	v_pk_fma_f32 v[20:21], v[126:127], v[20:21], v[52:53] neg_lo:[0,0,1] neg_hi:[0,0,1]
	global_load_dwordx4 v[52:55], v[56:57], off offset:2704
	s_nop 0
	global_load_dwordx4 v[56:59], v[56:57], off offset:2720
	v_mul_f32_e32 v40, v28, v144
	s_movk_i32 s1, 0x961
	v_fmac_f32_e32 v40, v128, v29
	v_pk_fma_f32 v[28:29], v[128:129], v[28:29], v[142:143] neg_lo:[0,0,1] neg_hi:[0,0,1]
	v_mov_b32_e32 v142, v26
	v_mov_b32_e32 v143, v23
	;; [unrolled: 1-line block ×5, first 2 shown]
	v_mad_u32_u24 v60, v34, s1, v60
	v_mov_b32_e32 v34, v41
	v_mov_b32_e32 v156, v139
	;; [unrolled: 1-line block ×5, first 2 shown]
	v_pk_fma_f32 v[142:143], v[34:35], v[142:143], v[154:155]
	v_mov_b32_e32 v34, v35
	v_mov_b32_e32 v35, v124
	v_pk_mul_f32 v[22:23], v[22:23], v[156:157]
	v_fmac_f32_e32 v146, v41, v27
	v_pk_fma_f32 v[26:27], v[32:33], v[26:27], v[154:155] neg_lo:[0,0,1] neg_hi:[0,0,1]
	v_pk_fma_f32 v[156:157], v[34:35], v[42:43], v[22:23] neg_lo:[0,0,1] neg_hi:[0,0,1]
	v_pk_fma_f32 v[22:23], v[34:35], v[42:43], v[22:23]
	v_mov_b32_e32 v29, v153
	v_mov_b32_e32 v27, v143
	;; [unrolled: 1-line block ×4, first 2 shown]
	v_pk_add_f32 v[154:155], v[26:27], v[28:29] neg_lo:[0,1] neg_hi:[0,1]
	v_pk_add_f32 v[34:35], v[156:157], v[20:21]
	v_pk_add_f32 v[28:29], v[26:27], v[28:29]
	v_add_f32_e32 v25, v146, v40
	v_add_f32_e32 v138, v149, v151
	v_mov_b32_e32 v139, v29
	v_mov_b32_e32 v24, v34
	v_add_f32_e32 v43, v35, v25
	v_add_f32_e32 v26, v138, v28
	v_mov_b32_e32 v27, v29
	v_mov_b32_e32 v42, v34
	;; [unrolled: 1-line block ×4, first 2 shown]
	v_pk_add_f32 v[20:21], v[138:139], v[24:25] neg_lo:[0,1] neg_hi:[0,1]
	v_pk_add_f32 v[26:27], v[26:27], v[42:43]
	v_mov_b32_e32 v147, v156
	v_pk_mul_f32 v[158:159], v[20:21], s[8:9]
	v_mov_b32_e32 v41, v31
	v_mov_b32_e32 v20, v23
	;; [unrolled: 1-line block ×5, first 2 shown]
	v_pk_add_f32 v[40:41], v[146:147], v[40:41] neg_lo:[0,1] neg_hi:[0,1]
	v_pk_add_f32 v[30:31], v[20:21], v[30:31] neg_lo:[0,1] neg_hi:[0,1]
	v_pk_add_f32 v[22:23], v[134:135], v[26:27]
	v_pk_add_f32 v[32:33], v[148:149], v[150:151] neg_lo:[0,1] neg_hi:[0,1]
	v_lshl_add_u64 v[42:43], v[60:61], 3, v[120:121]
	v_mov_b32_e32 v21, v154
	v_pk_fma_f32 v[134:135], v[26:27], s[10:11], v[22:23] op_sel_hi:[1,0,1] neg_lo:[1,0,0] neg_hi:[1,0,0]
	v_mov_b32_e32 v26, v30
	v_mov_b32_e32 v27, v41
	;; [unrolled: 1-line block ×4, first 2 shown]
	v_pk_add_f32 v[20:21], v[40:41], v[20:21]
	v_pk_add_f32 v[26:27], v[26:27], v[142:143] neg_lo:[0,1] neg_hi:[0,1]
	global_store_dwordx2 v[42:43], v[22:23], off
	v_pk_add_f32 v[22:23], v[32:33], v[40:41]
	v_pk_add_f32 v[146:147], v[34:35], v[28:29] neg_lo:[0,1] neg_hi:[0,1]
	v_mov_b32_e32 v31, v21
	v_pk_mul_f32 v[142:143], v[26:27], s[4:5]
	v_pk_add_f32 v[148:149], v[32:33], v[40:41] neg_lo:[0,1] neg_hi:[0,1]
	v_mov_b32_e32 v23, v33
	v_pk_fma_f32 v[20:21], v[146:147], s[14:15], v[158:159]
	v_pk_fma_f32 v[26:27], v[148:149], s[6:7], v[142:143]
	v_pk_add_f32 v[42:43], v[22:23], v[30:31]
	v_pk_add_f32 v[20:21], v[20:21], v[134:135]
	v_pk_fma_f32 v[22:23], v[42:43], s[0:1], v[26:27] op_sel_hi:[1,0,1]
	v_add_u32_e32 v156, 0x157, v60
	v_mov_b32_e32 v157, v61
	v_pk_add_f32 v[150:151], v[20:21], v[22:23] neg_lo:[0,1] neg_hi:[0,1]
	v_pk_add_f32 v[152:153], v[20:21], v[22:23]
	v_lshl_add_u64 v[156:157], v[156:157], 3, v[120:121]
	v_mov_b32_e32 v20, v152
	v_mov_b32_e32 v21, v151
	global_store_dwordx2 v[156:157], v[20:21], off
	v_mov_b32_e32 v29, v25
	global_load_dwordx4 v[20:23], v[46:47], off offset:2720
	global_load_dwordx4 v[24:27], v[44:45], off offset:2688
	v_mov_b32_e32 v139, v35
	v_pk_mul_f32 v[146:147], v[146:147], s[14:15]
	v_pk_mul_f32 v[46:47], v[148:149], s[6:7]
	v_mov_b32_e32 v41, v154
	v_mov_b32_e32 v31, v33
	v_pk_add_f32 v[148:149], v[28:29], v[138:139] neg_lo:[0,1] neg_hi:[0,1]
	v_mov_b32_e32 v28, v158
	v_mov_b32_e32 v29, v147
	v_pk_add_f32 v[40:41], v[40:41], v[30:31] neg_lo:[0,1] neg_hi:[0,1]
	v_mov_b32_e32 v30, v142
	v_mov_b32_e32 v31, v47
	v_pk_fma_f32 v[28:29], v[148:149], s[12:13], v[28:29] op_sel_hi:[1,0,1] neg_lo:[1,0,1] neg_hi:[1,0,1]
	v_pk_fma_f32 v[30:31], v[40:41], s[2:3], v[30:31] op_sel_hi:[1,0,1] neg_lo:[1,0,1] neg_hi:[1,0,1]
	v_pk_add_f32 v[28:29], v[28:29], v[134:135]
	v_pk_fma_f32 v[30:31], v[42:43], s[0:1], v[30:31] op_sel_hi:[1,0,1]
	v_add_u32_e32 v34, 0x2ae, v60
	v_mov_b32_e32 v35, v61
	v_pk_add_f32 v[154:155], v[28:29], v[30:31] neg_lo:[0,1] neg_hi:[0,1]
	v_pk_add_f32 v[156:157], v[28:29], v[30:31]
	v_lshl_add_u64 v[34:35], v[34:35], 3, v[120:121]
	v_mov_b32_e32 v28, v156
	v_mov_b32_e32 v29, v155
	v_mov_b32_e32 v47, v143
	global_store_dwordx2 v[34:35], v[28:29], off
	v_pk_fma_f32 v[40:41], v[40:41], s[2:3], v[46:47] op_sel_hi:[1,0,1] neg_lo:[0,0,1] neg_hi:[0,0,1]
	global_load_dwordx4 v[28:31], v[44:45], off offset:2704
	global_load_dwordx4 v[32:35], v[44:45], off offset:2720
	v_pk_fma_f32 v[160:161], v[42:43], s[0:1], v[40:41] op_sel_hi:[1,0,1]
	global_load_dwordx4 v[44:47], v[132:133], off offset:2704
	global_load_dwordx4 v[40:43], v[132:133], off offset:2688
	v_mov_b32_e32 v147, v159
	v_pk_fma_f32 v[132:133], v[148:149], s[12:13], v[146:147] op_sel_hi:[1,0,1] neg_lo:[0,0,1] neg_hi:[0,0,1]
	v_add_u32_e32 v146, 0x405, v60
	v_pk_add_f32 v[132:133], v[132:133], v[134:135]
	v_mov_b32_e32 v147, v61
	v_pk_add_f32 v[134:135], v[132:133], v[160:161]
	v_pk_add_f32 v[148:149], v[132:133], v[160:161] neg_lo:[0,1] neg_hi:[0,1]
	v_lshl_add_u64 v[146:147], v[146:147], 3, v[120:121]
	v_mov_b32_e32 v132, v148
	v_mov_b32_e32 v133, v135
	ds_read2_b32 v[142:143], v171 offset0:108 offset1:157
	ds_read2_b32 v[138:139], v170 offset0:190 offset1:239
	global_store_dwordx2 v[146:147], v[132:133], off
	ds_read2_b32 v[146:147], v169 offset0:16 offset1:65
	ds_read2_b32 v[132:133], v164 offset0:98 offset1:147
	v_mov_b32_e32 v155, v157
	v_add_u32_e32 v156, 0x6b3, v60
	v_mov_b32_e32 v157, v61
	v_add_u32_e32 v148, 0x55c, v60
	v_lshl_add_u64 v[156:157], v[156:157], 3, v[120:121]
	v_add_u32_e32 v60, 0x80a, v60
	v_mul_f32_e32 v70, v7, v103
	global_store_dwordx2 v[156:157], v[154:155], off
	v_lshl_add_u64 v[154:155], v[60:61], 3, v[120:121]
	v_mov_b32_e32 v151, v153
	s_waitcnt vmcnt(11)
	v_mov_b32_e32 v152, v57
	v_mov_b32_e32 v153, v52
	;; [unrolled: 1-line block ×3, first 2 shown]
	v_fma_f32 v119, v71, v6, -v70
	v_mov_b32_e32 v135, v149
	v_mov_b32_e32 v149, v61
	v_mul_f32_e32 v128, v56, v145
	global_store_dwordx2 v[154:155], v[150:151], off
	v_mov_b32_e32 v70, v129
	v_mov_b32_e32 v126, v129
	;; [unrolled: 1-line block ×4, first 2 shown]
	v_pk_mul_f32 v[144:145], v[152:153], v[140:141]
	v_mov_b32_e32 v152, v51
	v_mov_b32_e32 v153, v54
	s_waitcnt lgkmcnt(1)
	v_mov_b32_e32 v154, v146
	v_mov_b32_e32 v155, v138
	v_lshl_add_u64 v[148:149], v[148:149], 3, v[120:121]
	v_mul_f32_e32 v65, v49, v137
	v_fmac_f32_e32 v128, v129, v57
	v_pk_fma_f32 v[56:57], v[70:71], v[56:57], v[144:145] neg_lo:[0,0,1] neg_hi:[0,0,1]
	v_pk_fma_f32 v[144:145], v[126:127], v[150:151], v[144:145]
	v_mov_b32_e32 v150, v100
	v_mov_b32_e32 v151, v98
	v_pk_mul_f32 v[152:153], v[152:153], v[154:155]
	v_mov_b32_e32 v154, v50
	v_mov_b32_e32 v155, v55
	global_store_dwordx2 v[148:149], v[134:135], off
	v_fma_f32 v135, v125, v48, -v65
	v_mul_f32_e32 v65, v59, v142
	v_pk_fma_f32 v[150:151], v[150:151], v[154:155], v[152:153]
	v_mov_b32_e32 v155, v58
	v_mov_b32_e32 v154, v53
	;; [unrolled: 1-line block ×4, first 2 shown]
	v_fma_f32 v149, v108, v58, -v65
	v_mul_f32_e32 v126, v50, v146
	v_pk_mul_f32 v[140:141], v[154:155], v[140:141]
	v_mov_b32_e32 v154, v127
	v_mov_b32_e32 v155, v108
	;; [unrolled: 1-line block ×3, first 2 shown]
	v_fmac_f32_e32 v126, v100, v51
	v_pk_fma_f32 v[58:59], v[154:155], v[58:59], v[140:141]
	v_mov_b32_e32 v154, v55
	v_mov_b32_e32 v155, v48
	;; [unrolled: 1-line block ×3, first 2 shown]
	v_add_f32_e32 v53, v126, v128
	v_mov_b32_e32 v58, v127
	v_mov_b32_e32 v55, v49
	;; [unrolled: 1-line block ×3, first 2 shown]
	v_pk_mul_f32 v[136:137], v[154:155], v[136:137]
	v_pk_fma_f32 v[140:141], v[58:59], v[52:53], v[140:141] neg_lo:[0,0,1] neg_hi:[0,0,1]
	v_pk_fma_f32 v[50:51], v[100:101], v[50:51], v[152:153] neg_lo:[0,0,1] neg_hi:[0,0,1]
	;; [unrolled: 1-line block ×3, first 2 shown]
	v_pk_fma_f32 v[54:55], v[124:125], v[54:55], v[136:137]
	v_mov_b32_e32 v57, v145
	v_mov_b32_e32 v51, v151
	;; [unrolled: 1-line block ×4, first 2 shown]
	v_add_f32_e32 v156, v135, v149
	v_pk_add_f32 v[136:137], v[154:155], v[140:141]
	v_pk_add_f32 v[158:159], v[50:51], v[56:57]
	v_pk_add_f32 v[152:153], v[50:51], v[56:57] neg_lo:[0,1] neg_hi:[0,1]
	v_add_f32_e32 v125, v137, v53
	v_add_f32_e32 v50, v156, v158
	v_mov_b32_e32 v51, v159
	v_mov_b32_e32 v124, v136
	;; [unrolled: 1-line block ×4, first 2 shown]
	v_add_u32_e32 v60, 0x62, v165
	v_pk_add_f32 v[50:51], v[50:51], v[124:125]
	v_pk_add_f32 v[124:125], v[156:157], v[52:53] neg_lo:[0,1] neg_hi:[0,1]
	v_mov_b32_e32 v58, v59
	v_mov_b32_e32 v59, v140
	;; [unrolled: 1-line block ×3, first 2 shown]
	v_mul_hi_u32 v65, v60, s13
	v_mov_b32_e32 v127, v154
	v_mov_b32_e32 v129, v59
	v_pk_add_f32 v[54:55], v[52:53], v[58:59] neg_lo:[0,1] neg_hi:[0,1]
	v_lshrrev_b32_e32 v65, 8, v65
	v_pk_add_f32 v[126:127], v[126:127], v[128:129] neg_lo:[0,1] neg_hi:[0,1]
	v_mov_b32_e32 v55, v152
	v_mul_u32_u24_e32 v67, 0x157, v65
	v_pk_add_f32 v[58:59], v[126:127], v[54:55]
	v_sub_u32_e32 v60, v60, v67
	v_mov_b32_e32 v55, v59
	v_mov_b32_e32 v58, v90
	s_waitcnt lgkmcnt(0)
	v_mov_b32_e32 v59, v132
	v_mad_u32_u24 v60, v65, s1, v60
	v_pk_mul_f32 v[154:155], v[124:125], s[8:9]
	v_pk_add_f32 v[140:141], v[136:137], v[158:159] neg_lo:[0,1] neg_hi:[0,1]
	v_pk_add_f32 v[58:59], v[58:59], v[50:51]
	v_mov_b32_e32 v134, v151
	v_mov_b32_e32 v148, v145
	v_lshl_add_u64 v[48:49], v[60:61], 3, v[120:121]
	v_pk_fma_f32 v[124:125], v[140:141], s[14:15], v[154:155]
	v_pk_fma_f32 v[160:161], v[50:51], s[10:11], v[58:59] op_sel_hi:[1,0,1] neg_lo:[1,0,0] neg_hi:[1,0,0]
	v_pk_add_f32 v[134:135], v[134:135], v[148:149] neg_lo:[0,1] neg_hi:[0,1]
	v_pk_add_f32 v[50:51], v[124:125], v[160:161]
	v_mov_b32_e32 v124, v54
	v_mov_b32_e32 v125, v127
	;; [unrolled: 1-line block ×4, first 2 shown]
	global_store_dwordx2 v[48:49], v[58:59], off
	v_pk_add_f32 v[48:49], v[134:135], v[126:127]
	v_pk_add_f32 v[124:125], v[124:125], v[128:129] neg_lo:[0,1] neg_hi:[0,1]
	v_pk_add_f32 v[148:149], v[134:135], v[126:127] neg_lo:[0,1] neg_hi:[0,1]
	v_mov_b32_e32 v49, v135
	v_pk_mul_f32 v[144:145], v[124:125], s[4:5]
	v_pk_add_f32 v[150:151], v[48:49], v[54:55]
	v_mov_b32_e32 v159, v53
	v_mov_b32_e32 v157, v137
	v_pk_mul_f32 v[136:137], v[148:149], s[6:7]
	v_mov_b32_e32 v127, v152
	v_mov_b32_e32 v55, v135
	v_pk_add_f32 v[156:157], v[158:159], v[156:157] neg_lo:[0,1] neg_hi:[0,1]
	v_pk_mul_f32 v[158:159], v[140:141], s[14:15]
	v_pk_add_f32 v[54:55], v[126:127], v[54:55] neg_lo:[0,1] neg_hi:[0,1]
	v_mov_b32_e32 v126, v144
	v_mov_b32_e32 v127, v137
	;; [unrolled: 1-line block ×3, first 2 shown]
	v_pk_fma_f32 v[124:125], v[148:149], s[6:7], v[144:145]
	v_mov_b32_e32 v141, v159
	v_pk_fma_f32 v[126:127], v[54:55], s[2:3], v[126:127] op_sel_hi:[1,0,1] neg_lo:[1,0,1] neg_hi:[1,0,1]
	v_pk_fma_f32 v[134:135], v[54:55], s[2:3], v[136:137] op_sel_hi:[1,0,1] neg_lo:[0,0,1] neg_hi:[0,0,1]
	v_mov_b32_e32 v159, v155
	v_pk_fma_f32 v[48:49], v[150:151], s[0:1], v[124:125] op_sel_hi:[1,0,1]
	v_pk_fma_f32 v[126:127], v[150:151], s[0:1], v[126:127] op_sel_hi:[1,0,1]
	;; [unrolled: 1-line block ×3, first 2 shown]
	v_pk_fma_f32 v[150:151], v[156:157], s[12:13], v[158:159] op_sel_hi:[1,0,1] neg_lo:[0,0,1] neg_hi:[0,0,1]
	v_mov_b32_e32 v140, v154
	v_pk_add_f32 v[150:151], v[150:151], v[160:161]
	v_pk_fma_f32 v[140:141], v[156:157], s[12:13], v[140:141] op_sel_hi:[1,0,1] neg_lo:[1,0,1] neg_hi:[1,0,1]
	v_add_u32_e32 v154, 0x405, v60
	v_mov_b32_e32 v155, v61
	v_pk_add_f32 v[156:157], v[150:151], v[144:145]
	v_pk_add_f32 v[150:151], v[150:151], v[144:145] neg_lo:[0,1] neg_hi:[0,1]
	v_lshl_add_u64 v[154:155], v[154:155], 3, v[120:121]
	v_mov_b32_e32 v144, v150
	v_mov_b32_e32 v145, v157
	ds_read2_b32 v[148:149], v166 offset0:70 offset1:119
	global_store_dwordx2 v[154:155], v[144:145], off
	ds_read2_b32 v[144:145], v110 offset0:152 offset1:201
	v_pk_add_f32 v[140:141], v[140:141], v[160:161]
	ds_read2_b32 v[124:125], v168 offset0:32 offset1:81
	ds_read2_b32 v[128:129], v169 offset0:114 offset1:163
	v_pk_add_f32 v[152:153], v[140:141], v[126:127] neg_lo:[0,1] neg_hi:[0,1]
	v_pk_add_f32 v[168:169], v[140:141], v[126:127]
	v_mov_b32_e32 v157, v151
	v_add_u32_e32 v150, 0x55c, v60
	v_mov_b32_e32 v151, v61
	v_add_u32_e32 v154, 0x6b3, v60
	;; [unrolled: 2-line block ×3, first 2 shown]
	v_pk_add_f32 v[162:163], v[50:51], v[48:49] neg_lo:[0,1] neg_hi:[0,1]
	v_pk_add_f32 v[58:59], v[50:51], v[48:49]
	v_add_u32_e32 v52, 0x2ae, v60
	v_mov_b32_e32 v127, v153
	v_lshl_add_u64 v[150:151], v[150:151], 3, v[120:121]
	v_mov_b32_e32 v153, v169
	v_lshl_add_u64 v[154:155], v[154:155], 3, v[120:121]
	v_add_u32_e32 v60, 0x80a, v60
	v_mov_b32_e32 v49, v163
	ds_read2_b32 v[140:141], v167 offset0:106 offset1:155
	global_store_dwordx2 v[150:151], v[156:157], off
	global_store_dwordx2 v[154:155], v[152:153], off
	v_lshl_add_u64 v[152:153], v[60:61], 3, v[120:121]
	v_mov_b32_e32 v163, v59
	v_mov_b32_e32 v154, v37
	s_waitcnt vmcnt(9)
	v_mov_b32_e32 v155, v44
	s_waitcnt lgkmcnt(4)
	v_mov_b32_e32 v156, v148
	s_waitcnt lgkmcnt(3)
	v_mov_b32_e32 v157, v144
	v_mul_f32_e32 v146, v36, v148
	global_store_dwordx2 v[152:153], v[162:163], off
	v_mov_b32_e32 v152, v88
	v_mov_b32_e32 v153, v86
	v_pk_mul_f32 v[154:155], v[154:155], v[156:157]
	v_mov_b32_e32 v156, v36
	v_mov_b32_e32 v157, v45
	;; [unrolled: 1-line block ×3, first 2 shown]
	v_mul_f32_e32 v50, v39, v143
	v_fmac_f32_e32 v146, v88, v37
	v_pk_fma_f32 v[152:153], v[152:153], v[156:157], v[154:155]
	v_pk_fma_f32 v[36:37], v[88:89], v[36:37], v[154:155] neg_lo:[0,0,1] neg_hi:[0,0,1]
	v_mov_b32_e32 v155, v38
	v_mov_b32_e32 v154, v45
	;; [unrolled: 1-line block ×3, first 2 shown]
	v_lshl_add_u64 v[56:57], v[56:57], 3, v[120:121]
	v_mov_b32_e32 v48, v58
	v_fma_f32 v151, v109, v38, -v50
	v_pk_mul_f32 v[142:143], v[154:155], v[142:143]
	v_mov_b32_e32 v45, v46
	v_mov_b32_e32 v108, v86
	;; [unrolled: 1-line block ×3, first 2 shown]
	global_store_dwordx2 v[56:57], v[48:49], off
	v_mul_f32_e32 v48, v23, v131
	v_mov_b32_e32 v138, v147
	v_pk_fma_f32 v[38:39], v[108:109], v[38:39], v[142:143]
	v_pk_fma_f32 v[108:109], v[86:87], v[44:45], v[142:143] neg_lo:[0,0,1] neg_hi:[0,0,1]
	s_waitcnt vmcnt(10)
	v_mov_b32_e32 v44, v43
	v_fma_f32 v51, v81, v22, -v48
	s_waitcnt lgkmcnt(0)
	v_mul_f32_e32 v48, v25, v141
	v_mul_f32_e32 v156, v42, v147
	v_mov_b32_e32 v38, v101
	v_pk_mul_f32 v[44:45], v[44:45], v[138:139]
	v_add_u32_e32 v37, 0x93, v165
	v_fma_f32 v135, v85, v24, -v48
	v_mul_f32_e32 v48, v35, v130
	v_fmac_f32_e32 v156, v101, v43
	v_mov_b32_e32 v158, v42
	v_pk_fma_f32 v[42:43], v[38:39], v[42:43], v[44:45] neg_lo:[0,0,1] neg_hi:[0,0,1]
	v_mul_hi_u32 v38, v37, s13
	v_fma_f32 v137, v80, v34, -v48
	v_mul_f32_e32 v48, v41, v140
	v_mov_b32_e32 v159, v47
	v_mov_b32_e32 v142, v47
	;; [unrolled: 1-line block ×3, first 2 shown]
	v_lshrrev_b32_e32 v38, 8, v38
	v_mov_b32_e32 v98, v101
	v_mov_b32_e32 v160, v139
	v_mov_b32_e32 v161, v140
	v_mov_b32_e32 v47, v41
	v_fma_f32 v41, v84, v40, -v48
	v_mul_u32_u24_e32 v40, 0x157, v38
	v_pk_fma_f32 v[44:45], v[98:99], v[158:159], v[44:45]
	v_mov_b32_e32 v98, v99
	v_mov_b32_e32 v99, v84
	v_pk_mul_f32 v[142:143], v[142:143], v[160:161]
	v_sub_u32_e32 v37, v37, v40
	v_pk_fma_f32 v[160:161], v[98:99], v[46:47], v[142:143] neg_lo:[0,0,1] neg_hi:[0,0,1]
	v_pk_fma_f32 v[46:47], v[98:99], v[46:47], v[142:143]
	v_mad_u32_u24 v60, v38, s1, v37
	v_mov_b32_e32 v37, v153
	v_mov_b32_e32 v43, v45
	v_mov_b32_e32 v109, v39
	v_mov_b32_e32 v161, v47
	v_add_f32_e32 v155, v156, v146
	v_add_f32_e32 v138, v41, v151
	v_pk_add_f32 v[158:159], v[42:43], v[36:37] neg_lo:[0,1] neg_hi:[0,1]
	v_pk_add_f32 v[98:99], v[160:161], v[108:109]
	v_pk_add_f32 v[36:37], v[42:43], v[36:37]
	v_mov_b32_e32 v38, v39
	v_mov_b32_e32 v39, v108
	;; [unrolled: 1-line block ×3, first 2 shown]
	v_add_f32_e32 v143, v99, v155
	v_add_f32_e32 v42, v138, v36
	v_mov_b32_e32 v43, v37
	v_mov_b32_e32 v142, v98
	;; [unrolled: 1-line block ×4, first 2 shown]
	v_pk_add_f32 v[38:39], v[40:41], v[38:39] neg_lo:[0,1] neg_hi:[0,1]
	v_mov_b32_e32 v40, v45
	v_mov_b32_e32 v150, v153
	v_mov_b32_e32 v53, v61
	v_pk_add_f32 v[42:43], v[42:43], v[142:143]
	v_pk_add_f32 v[146:147], v[156:157], v[146:147] neg_lo:[0,1] neg_hi:[0,1]
	v_mov_b32_e32 v132, v91
	v_pk_add_f32 v[40:41], v[40:41], v[150:151] neg_lo:[0,1] neg_hi:[0,1]
	v_lshl_add_u64 v[52:53], v[52:53], 3, v[120:121]
	v_mov_b32_e32 v126, v168
	v_lshl_add_u64 v[142:143], v[60:61], 3, v[120:121]
	v_mov_b32_e32 v139, v37
	v_mov_b32_e32 v154, v98
	v_pk_add_f32 v[156:157], v[98:99], v[36:37] neg_lo:[0,1] neg_hi:[0,1]
	v_mov_b32_e32 v37, v158
	v_pk_add_f32 v[132:133], v[132:133], v[42:43]
	v_mov_b32_e32 v44, v38
	v_mov_b32_e32 v45, v147
	;; [unrolled: 1-line block ×4, first 2 shown]
	global_store_dwordx2 v[52:53], v[126:127], off
	v_pk_add_f32 v[108:109], v[138:139], v[154:155] neg_lo:[0,1] neg_hi:[0,1]
	v_pk_add_f32 v[46:47], v[146:147], v[36:37]
	v_pk_fma_f32 v[42:43], v[42:43], s[10:11], v[132:133] op_sel_hi:[1,0,1] neg_lo:[1,0,0] neg_hi:[1,0,0]
	v_pk_add_f32 v[44:45], v[44:45], v[150:151] neg_lo:[0,1] neg_hi:[0,1]
	global_store_dwordx2 v[142:143], v[132:133], off
	v_pk_add_f32 v[132:133], v[40:41], v[146:147]
	v_pk_mul_f32 v[108:109], v[108:109], s[8:9]
	v_mov_b32_e32 v39, v47
	v_pk_mul_f32 v[44:45], v[44:45], s[4:5]
	v_pk_add_f32 v[150:151], v[40:41], v[146:147] neg_lo:[0,1] neg_hi:[0,1]
	v_mov_b32_e32 v133, v41
	v_pk_fma_f32 v[46:47], v[156:157], s[14:15], v[108:109]
	v_pk_fma_f32 v[152:153], v[150:151], s[6:7], v[44:45]
	v_pk_add_f32 v[132:133], v[132:133], v[38:39]
	v_mov_b32_e32 v37, v155
	v_mov_b32_e32 v139, v99
	v_pk_mul_f32 v[156:157], v[156:157], s[14:15]
	v_pk_mul_f32 v[150:151], v[150:151], s[6:7]
	v_mov_b32_e32 v147, v158
	v_mov_b32_e32 v39, v41
	v_pk_add_f32 v[46:47], v[46:47], v[42:43]
	v_pk_fma_f32 v[142:143], v[132:133], s[0:1], v[152:153] op_sel_hi:[1,0,1]
	v_pk_add_f32 v[36:37], v[36:37], v[138:139] neg_lo:[0,1] neg_hi:[0,1]
	v_mov_b32_e32 v158, v108
	v_mov_b32_e32 v159, v157
	v_pk_add_f32 v[38:39], v[146:147], v[38:39] neg_lo:[0,1] neg_hi:[0,1]
	v_mov_b32_e32 v146, v44
	v_mov_b32_e32 v147, v151
	;; [unrolled: 1-line block ×4, first 2 shown]
	v_add_u32_e32 v160, 0x157, v60
	v_mov_b32_e32 v161, v61
	v_pk_add_f32 v[152:153], v[46:47], v[142:143] neg_lo:[0,1] neg_hi:[0,1]
	v_pk_add_f32 v[46:47], v[46:47], v[142:143]
	v_pk_fma_f32 v[158:159], v[36:37], s[12:13], v[158:159] op_sel_hi:[1,0,1] neg_lo:[1,0,1] neg_hi:[1,0,1]
	v_pk_fma_f32 v[146:147], v[38:39], s[2:3], v[146:147] op_sel_hi:[1,0,1] neg_lo:[1,0,1] neg_hi:[1,0,1]
	;; [unrolled: 1-line block ×4, first 2 shown]
	v_lshl_add_u64 v[160:161], v[160:161], 3, v[120:121]
	v_mov_b32_e32 v142, v46
	v_mov_b32_e32 v143, v153
	v_pk_add_f32 v[158:159], v[158:159], v[42:43]
	v_pk_fma_f32 v[146:147], v[132:133], s[0:1], v[146:147] op_sel_hi:[1,0,1]
	v_pk_fma_f32 v[38:39], v[132:133], s[0:1], v[38:39] op_sel_hi:[1,0,1]
	v_pk_add_f32 v[36:37], v[36:37], v[42:43]
	v_mul_f32_e32 v63, v17, v94
	v_mul_f32_e32 v90, v32, v149
	global_store_dwordx2 v[160:161], v[142:143], off
	v_add_u32_e32 v138, 0x55c, v60
	v_mov_b32_e32 v139, v61
	v_pk_add_f32 v[160:161], v[158:159], v[146:147] neg_lo:[0,1] neg_hi:[0,1]
	v_pk_add_f32 v[146:147], v[158:159], v[146:147]
	v_pk_add_f32 v[42:43], v[36:37], v[38:39]
	v_pk_add_f32 v[36:37], v[36:37], v[38:39] neg_lo:[0,1] neg_hi:[0,1]
	v_mov_b32_e32 v132, v33
	v_mov_b32_e32 v133, v28
	;; [unrolled: 1-line block ×3, first 2 shown]
	v_fma_f32 v49, v68, v16, -v63
	v_fmac_f32_e32 v90, v89, v33
	v_lshl_add_u64 v[138:139], v[138:139], 3, v[120:121]
	v_mov_b32_e32 v158, v146
	v_mov_b32_e32 v159, v161
	;; [unrolled: 1-line block ×9, first 2 shown]
	v_pk_mul_f32 v[132:133], v[132:133], v[144:145]
	v_mov_b32_e32 v146, v27
	v_mov_b32_e32 v147, v30
	;; [unrolled: 1-line block ×4, first 2 shown]
	v_mul_f32_e32 v100, v26, v128
	global_store_dwordx2 v[138:139], v[42:43], off
	v_pk_fma_f32 v[32:33], v[48:49], v[32:33], v[132:133] neg_lo:[0,0,1] neg_hi:[0,0,1]
	v_pk_fma_f32 v[88:89], v[86:87], v[88:89], v[132:133]
	v_mov_b32_e32 v132, v82
	v_mov_b32_e32 v133, v78
	;; [unrolled: 1-line block ×4, first 2 shown]
	v_pk_mul_f32 v[146:147], v[146:147], v[148:149]
	v_fmac_f32_e32 v100, v82, v27
	v_pk_fma_f32 v[26:27], v[82:83], v[26:27], v[146:147] neg_lo:[0,0,1] neg_hi:[0,0,1]
	v_pk_fma_f32 v[132:133], v[132:133], v[138:139], v[146:147]
	v_mov_b32_e32 v147, v35
	v_mov_b32_e32 v148, v29
	v_mov_b32_e32 v149, v34
	v_mov_b32_e32 v34, v145
	v_mov_b32_e32 v35, v130
	v_mov_b32_e32 v48, v87
	v_mov_b32_e32 v86, v87
	v_mov_b32_e32 v87, v80
	v_mov_b32_e32 v146, v28
	v_pk_mul_f32 v[34:35], v[148:149], v[34:35]
	v_mov_b32_e32 v140, v124
	v_pk_fma_f32 v[28:29], v[48:49], v[28:29], v[34:35] neg_lo:[0,0,1] neg_hi:[0,0,1]
	v_pk_fma_f32 v[34:35], v[86:87], v[146:147], v[34:35]
	v_mov_b32_e32 v86, v30
	v_mov_b32_e32 v30, v31
	v_mov_b32_e32 v31, v24
	v_mov_b32_e32 v84, v78
	v_mov_b32_e32 v87, v25
	v_pk_mul_f32 v[24:25], v[30:31], v[140:141]
	v_mov_b32_e32 v33, v89
	v_mov_b32_e32 v27, v133
	v_pk_fma_f32 v[30:31], v[84:85], v[86:87], v[24:25] neg_lo:[0,0,1] neg_hi:[0,0,1]
	v_pk_fma_f32 v[24:25], v[84:85], v[86:87], v[24:25]
	ds_read2_b32 v[126:127], v164 offset0:196 offset1:245
	v_pk_add_f32 v[138:139], v[26:27], v[32:33] neg_lo:[0,1] neg_hi:[0,1]
	v_mov_b32_e32 v29, v35
	v_mov_b32_e32 v31, v25
	;; [unrolled: 1-line block ×4, first 2 shown]
	v_pk_add_f32 v[84:85], v[30:31], v[28:29]
	v_mov_b32_e32 v30, v35
	v_mov_b32_e32 v31, v28
	v_pk_add_f32 v[28:29], v[100:101], v[90:91] neg_lo:[0,1] neg_hi:[0,1]
	v_mov_b32_e32 v24, v25
	v_mov_b32_e32 v25, v138
	v_pk_add_f32 v[30:31], v[24:25], v[30:31] neg_lo:[0,1] neg_hi:[0,1]
	v_pk_add_f32 v[24:25], v[28:29], v[24:25]
	v_mov_b32_e32 v134, v133
	v_mov_b32_e32 v136, v89
	v_add_f32_e32 v143, v100, v90
	v_add_f32_e32 v40, v135, v137
	v_mov_b32_e32 v38, v36
	v_add_u32_e32 v36, 0xc4, v165
	v_pk_add_f32 v[26:27], v[26:27], v[32:33]
	v_mov_b32_e32 v31, v25
	v_pk_add_f32 v[24:25], v[134:135], v[136:137] neg_lo:[0,1] neg_hi:[0,1]
	v_add_u32_e32 v98, 0x405, v60
	v_mov_b32_e32 v99, v61
	v_mul_hi_u32 v37, v36, s13
	v_add_f32_e32 v87, v85, v143
	v_mov_b32_e32 v41, v27
	v_mov_b32_e32 v142, v84
	v_add_f32_e32 v146, v40, v26
	v_mov_b32_e32 v147, v27
	v_mov_b32_e32 v86, v84
	;; [unrolled: 1-line block ×6, first 2 shown]
	v_add_u32_e32 v154, 0x2ae, v60
	v_mov_b32_e32 v155, v61
	v_lshl_add_u64 v[98:99], v[98:99], 3, v[120:121]
	v_lshrrev_b32_e32 v37, 8, v37
	v_pk_add_f32 v[32:33], v[40:41], v[142:143] neg_lo:[0,1] neg_hi:[0,1]
	v_pk_add_f32 v[86:87], v[146:147], v[86:87]
	v_mov_b32_e32 v146, v76
	s_waitcnt lgkmcnt(0)
	v_mov_b32_e32 v147, v126
	v_pk_add_f32 v[34:35], v[34:35], v[88:89] neg_lo:[0,1] neg_hi:[0,1]
	v_pk_add_f32 v[100:101], v[24:25], v[28:29]
	v_lshl_add_u64 v[154:155], v[154:155], 3, v[120:121]
	global_store_dwordx2 v[98:99], v[38:39], off
	v_mul_u32_u24_e32 v38, 0x157, v37
	v_pk_mul_f32 v[32:33], v[32:33], s[8:9]
	v_pk_add_f32 v[140:141], v[84:85], v[26:27] neg_lo:[0,1] neg_hi:[0,1]
	v_pk_add_f32 v[146:147], v[146:147], v[86:87]
	v_pk_mul_f32 v[34:35], v[34:35], s[4:5]
	v_pk_add_f32 v[88:89], v[24:25], v[28:29] neg_lo:[0,1] neg_hi:[0,1]
	v_mov_b32_e32 v101, v25
	global_store_dwordx2 v[154:155], v[158:159], off
	v_add_u32_e32 v154, 0x6b3, v60
	v_add_u32_e32 v60, 0x80a, v60
	v_sub_u32_e32 v36, v36, v38
	v_pk_mul_f32 v[144:145], v[140:141], s[14:15]
	v_pk_fma_f32 v[140:141], v[140:141], s[14:15], v[32:33]
	v_pk_fma_f32 v[86:87], v[86:87], s[10:11], v[146:147] op_sel_hi:[1,0,1] neg_lo:[1,0,0] neg_hi:[1,0,0]
	v_pk_mul_f32 v[90:91], v[88:89], s[6:7]
	v_pk_fma_f32 v[88:89], v[88:89], s[6:7], v[34:35]
	v_pk_add_f32 v[100:101], v[100:101], v[30:31]
	v_mov_b32_e32 v155, v61
	v_lshl_add_u64 v[158:159], v[60:61], 3, v[120:121]
	v_mad_u32_u24 v60, v37, s1, v36
	v_pk_add_f32 v[140:141], v[140:141], v[86:87]
	v_pk_fma_f32 v[88:89], v[100:101], s[0:1], v[88:89] op_sel_hi:[1,0,1]
	v_lshl_add_u64 v[154:155], v[154:155], 3, v[120:121]
	v_mov_b32_e32 v153, v47
	v_lshl_add_u64 v[36:37], v[60:61], 3, v[120:121]
	v_add_u32_e32 v38, 0x157, v60
	v_mov_b32_e32 v39, v61
	v_pk_add_f32 v[132:133], v[140:141], v[88:89] neg_lo:[0,1] neg_hi:[0,1]
	v_pk_add_f32 v[88:89], v[140:141], v[88:89]
	global_store_dwordx2 v[154:155], v[160:161], off
	global_store_dwordx2 v[158:159], v[152:153], off
	v_lshl_add_u64 v[38:39], v[38:39], 3, v[120:121]
	global_store_dwordx2 v[36:37], v[146:147], off
	v_mov_b32_e32 v36, v88
	v_mov_b32_e32 v37, v133
	;; [unrolled: 1-line block ×6, first 2 shown]
	global_store_dwordx2 v[38:39], v[36:37], off
	v_mov_b32_e32 v36, v32
	v_mov_b32_e32 v37, v145
	v_pk_add_f32 v[26:27], v[26:27], v[40:41] neg_lo:[0,1] neg_hi:[0,1]
	v_pk_add_f32 v[24:25], v[28:29], v[30:31] neg_lo:[0,1] neg_hi:[0,1]
	v_mov_b32_e32 v28, v34
	v_mov_b32_e32 v29, v91
	v_mov_b32_e32 v91, v35
	v_mov_b32_e32 v145, v33
	v_pk_fma_f32 v[36:37], v[26:27], s[12:13], v[36:37] op_sel_hi:[1,0,1] neg_lo:[1,0,1] neg_hi:[1,0,1]
	v_pk_fma_f32 v[28:29], v[24:25], s[2:3], v[28:29] op_sel_hi:[1,0,1] neg_lo:[1,0,1] neg_hi:[1,0,1]
	;; [unrolled: 1-line block ×4, first 2 shown]
	v_pk_add_f32 v[36:37], v[36:37], v[86:87]
	v_pk_fma_f32 v[28:29], v[100:101], s[0:1], v[28:29] op_sel_hi:[1,0,1]
	v_pk_fma_f32 v[24:25], v[100:101], s[0:1], v[24:25] op_sel_hi:[1,0,1]
	v_pk_add_f32 v[26:27], v[26:27], v[86:87]
	v_add_u32_e32 v42, 0x2ae, v60
	v_mov_b32_e32 v43, v61
	v_add_u32_e32 v44, 0x405, v60
	v_mov_b32_e32 v45, v61
	v_pk_add_f32 v[30:31], v[36:37], v[28:29] neg_lo:[0,1] neg_hi:[0,1]
	v_pk_add_f32 v[28:29], v[36:37], v[28:29]
	v_pk_add_f32 v[32:33], v[26:27], v[24:25]
	v_pk_add_f32 v[24:25], v[26:27], v[24:25] neg_lo:[0,1] neg_hi:[0,1]
	v_lshl_add_u64 v[42:43], v[42:43], 3, v[120:121]
	v_lshl_add_u64 v[44:45], v[44:45], 3, v[120:121]
	v_mov_b32_e32 v36, v28
	v_mov_b32_e32 v37, v31
	;; [unrolled: 1-line block ×4, first 2 shown]
	v_add_u32_e32 v46, 0x55c, v60
	v_mov_b32_e32 v47, v61
	global_store_dwordx2 v[42:43], v[36:37], off
	global_store_dwordx2 v[44:45], v[26:27], off
	v_mov_b32_e32 v42, v21
	v_mov_b32_e32 v43, v12
	;; [unrolled: 1-line block ×4, first 2 shown]
	v_mul_f32_e32 v56, v20, v112
	v_lshl_add_u64 v[46:47], v[46:47], 3, v[120:121]
	v_mov_b32_e32 v33, v25
	v_mov_b32_e32 v38, v74
	;; [unrolled: 1-line block ×5, first 2 shown]
	v_pk_mul_f32 v[42:43], v[42:43], v[44:45]
	v_fmac_f32_e32 v56, v74, v21
	global_store_dwordx2 v[46:47], v[32:33], off
	v_pk_fma_f32 v[20:21], v[74:75], v[20:21], v[42:43] neg_lo:[0,0,1] neg_hi:[0,0,1]
	v_pk_fma_f32 v[38:39], v[38:39], v[40:41], v[42:43]
	v_mov_b32_e32 v42, v19
	v_mov_b32_e32 v43, v14
	;; [unrolled: 1-line block ×6, first 2 shown]
	v_mul_f32_e32 v58, v18, v129
	v_mov_b32_e32 v38, v83
	v_mov_b32_e32 v78, v83
	;; [unrolled: 1-line block ×4, first 2 shown]
	v_pk_mul_f32 v[42:43], v[42:43], v[124:125]
	v_mov_b32_e32 v80, v72
	v_mov_b32_e32 v44, v12
	;; [unrolled: 1-line block ×3, first 2 shown]
	v_pk_mul_f32 v[22:23], v[46:47], v[130:131]
	v_mov_b32_e32 v46, v14
	v_mov_b32_e32 v47, v17
	;; [unrolled: 1-line block ×6, first 2 shown]
	v_fmac_f32_e32 v58, v83, v19
	v_pk_fma_f32 v[18:19], v[38:39], v[18:19], v[42:43] neg_lo:[0,0,1] neg_hi:[0,0,1]
	v_pk_fma_f32 v[40:41], v[78:79], v[40:41], v[42:43]
	v_pk_fma_f32 v[12:13], v[72:73], v[12:13], v[22:23] neg_lo:[0,0,1] neg_hi:[0,0,1]
	v_pk_fma_f32 v[22:23], v[80:81], v[44:45], v[22:23]
	v_mov_b32_e32 v44, v79
	v_mov_b32_e32 v45, v68
	v_pk_mul_f32 v[14:15], v[14:15], v[16:17]
	v_mov_b32_e32 v21, v39
	v_mov_b32_e32 v19, v41
	v_pk_fma_f32 v[16:17], v[44:45], v[46:47], v[14:15] neg_lo:[0,0,1] neg_hi:[0,0,1]
	v_pk_fma_f32 v[14:15], v[44:45], v[46:47], v[14:15]
	v_pk_add_f32 v[42:43], v[18:19], v[20:21] neg_lo:[0,1] neg_hi:[0,1]
	v_mov_b32_e32 v13, v23
	v_mov_b32_e32 v17, v15
	;; [unrolled: 1-line block ×4, first 2 shown]
	v_pk_add_f32 v[44:45], v[16:17], v[12:13]
	v_mov_b32_e32 v16, v23
	v_mov_b32_e32 v17, v12
	v_pk_add_f32 v[12:13], v[58:59], v[56:57] neg_lo:[0,1] neg_hi:[0,1]
	v_mov_b32_e32 v14, v15
	v_mov_b32_e32 v15, v42
	v_pk_add_f32 v[16:17], v[14:15], v[16:17] neg_lo:[0,1] neg_hi:[0,1]
	v_pk_add_f32 v[14:15], v[12:13], v[14:15]
	v_mov_b32_e32 v48, v41
	v_mov_b32_e32 v50, v39
	v_add_f32_e32 v53, v58, v56
	v_add_f32_e32 v54, v49, v51
	v_add_u32_e32 v24, 0xf5, v165
	v_pk_add_f32 v[18:19], v[18:19], v[20:21]
	v_mov_b32_e32 v17, v15
	v_pk_add_f32 v[14:15], v[48:49], v[50:51] neg_lo:[0,1] neg_hi:[0,1]
	v_mul_hi_u32 v25, v24, s13
	v_add_f32_e32 v47, v45, v53
	v_mov_b32_e32 v55, v19
	v_mov_b32_e32 v52, v44
	v_add_f32_e32 v82, v54, v18
	v_mov_b32_e32 v83, v19
	v_mov_b32_e32 v46, v44
	;; [unrolled: 1-line block ×6, first 2 shown]
	v_lshrrev_b32_e32 v25, 8, v25
	v_pk_add_f32 v[20:21], v[54:55], v[52:53] neg_lo:[0,1] neg_hi:[0,1]
	v_pk_add_f32 v[46:47], v[82:83], v[46:47]
	v_mov_b32_e32 v126, v77
	v_pk_add_f32 v[22:23], v[22:23], v[38:39] neg_lo:[0,1] neg_hi:[0,1]
	v_pk_add_f32 v[48:49], v[14:15], v[12:13]
	v_mul_u32_u24_e32 v26, 0x157, v25
	v_pk_mul_f32 v[20:21], v[20:21], s[8:9]
	v_pk_add_f32 v[78:79], v[44:45], v[18:19] neg_lo:[0,1] neg_hi:[0,1]
	v_pk_add_f32 v[76:77], v[126:127], v[46:47]
	v_pk_mul_f32 v[22:23], v[22:23], s[4:5]
	v_pk_add_f32 v[38:39], v[14:15], v[12:13] neg_lo:[0,1] neg_hi:[0,1]
	v_mov_b32_e32 v49, v15
	v_add_u32_e32 v98, 0x6b3, v60
	v_add_u32_e32 v60, 0x80a, v60
	v_sub_u32_e32 v24, v24, v26
	v_pk_mul_f32 v[80:81], v[78:79], s[14:15]
	v_pk_fma_f32 v[78:79], v[78:79], s[14:15], v[20:21]
	v_pk_fma_f32 v[46:47], v[46:47], s[10:11], v[76:77] op_sel_hi:[1,0,1] neg_lo:[1,0,0] neg_hi:[1,0,0]
	v_pk_mul_f32 v[40:41], v[38:39], s[6:7]
	v_pk_fma_f32 v[38:39], v[38:39], s[6:7], v[22:23]
	v_pk_add_f32 v[48:49], v[48:49], v[16:17]
	v_mov_b32_e32 v99, v61
	v_lshl_add_u64 v[108:109], v[60:61], 3, v[120:121]
	v_mad_u32_u24 v60, v25, s1, v24
	v_pk_add_f32 v[78:79], v[78:79], v[46:47]
	v_pk_fma_f32 v[38:39], v[48:49], s[0:1], v[38:39] op_sel_hi:[1,0,1]
	v_lshl_add_u64 v[98:99], v[98:99], 3, v[120:121]
	v_mov_b32_e32 v31, v29
	v_mov_b32_e32 v133, v89
	v_lshl_add_u64 v[24:25], v[60:61], 3, v[120:121]
	v_add_u32_e32 v26, 0x157, v60
	v_mov_b32_e32 v27, v61
	v_pk_add_f32 v[50:51], v[78:79], v[38:39] neg_lo:[0,1] neg_hi:[0,1]
	v_pk_add_f32 v[38:39], v[78:79], v[38:39]
	global_store_dwordx2 v[98:99], v[30:31], off
	global_store_dwordx2 v[108:109], v[132:133], off
	v_lshl_add_u64 v[26:27], v[26:27], 3, v[120:121]
	global_store_dwordx2 v[24:25], v[76:77], off
	v_mov_b32_e32 v24, v38
	v_mov_b32_e32 v25, v51
	;; [unrolled: 1-line block ×6, first 2 shown]
	global_store_dwordx2 v[26:27], v[24:25], off
	v_mov_b32_e32 v24, v20
	v_mov_b32_e32 v25, v81
	v_pk_add_f32 v[18:19], v[18:19], v[54:55] neg_lo:[0,1] neg_hi:[0,1]
	v_pk_add_f32 v[12:13], v[12:13], v[16:17] neg_lo:[0,1] neg_hi:[0,1]
	v_mov_b32_e32 v14, v22
	v_mov_b32_e32 v15, v41
	;; [unrolled: 1-line block ×4, first 2 shown]
	v_pk_fma_f32 v[24:25], v[18:19], s[12:13], v[24:25] op_sel_hi:[1,0,1] neg_lo:[1,0,1] neg_hi:[1,0,1]
	v_pk_fma_f32 v[14:15], v[12:13], s[2:3], v[14:15] op_sel_hi:[1,0,1] neg_lo:[1,0,1] neg_hi:[1,0,1]
	;; [unrolled: 1-line block ×4, first 2 shown]
	v_pk_fma_f32 v[12:13], v[48:49], s[0:1], v[12:13] op_sel_hi:[1,0,1]
	v_pk_add_f32 v[18:19], v[18:19], v[46:47]
	v_add_u32_e32 v30, 0x405, v60
	v_mov_b32_e32 v31, v61
	v_pk_add_f32 v[24:25], v[24:25], v[46:47]
	v_pk_fma_f32 v[14:15], v[48:49], s[0:1], v[14:15] op_sel_hi:[1,0,1]
	v_pk_add_f32 v[20:21], v[18:19], v[12:13]
	v_pk_add_f32 v[12:13], v[18:19], v[12:13] neg_lo:[0,1] neg_hi:[0,1]
	v_add_u32_e32 v28, 0x2ae, v60
	v_mov_b32_e32 v29, v61
	v_lshl_add_u64 v[30:31], v[30:31], 3, v[120:121]
	v_pk_add_f32 v[16:17], v[24:25], v[14:15] neg_lo:[0,1] neg_hi:[0,1]
	v_pk_add_f32 v[14:15], v[24:25], v[14:15]
	v_mov_b32_e32 v18, v12
	v_mov_b32_e32 v19, v21
	v_lshl_add_u64 v[28:29], v[28:29], 3, v[120:121]
	v_add_u32_e32 v34, 0x6b3, v60
	v_mov_b32_e32 v35, v61
	v_mov_b32_e32 v24, v14
	;; [unrolled: 1-line block ×3, first 2 shown]
	global_store_dwordx2 v[30:31], v[18:19], off
	v_mov_b32_e32 v30, v5
	v_mov_b32_e32 v31, v8
	;; [unrolled: 1-line block ×3, first 2 shown]
	v_mul_f32_e32 v114, v4, v113
	v_add_u32_e32 v32, 0x55c, v60
	v_mov_b32_e32 v33, v61
	v_lshl_add_u64 v[34:35], v[34:35], 3, v[120:121]
	global_store_dwordx2 v[28:29], v[24:25], off
	v_mov_b32_e32 v17, v15
	v_mov_b32_e32 v26, v75
	;; [unrolled: 1-line block ×5, first 2 shown]
	v_pk_mul_f32 v[30:31], v[30:31], v[104:105]
	v_fmac_f32_e32 v114, v75, v5
	v_lshl_add_u64 v[32:33], v[32:33], 3, v[120:121]
	v_mov_b32_e32 v21, v13
	global_store_dwordx2 v[34:35], v[16:17], off
	v_pk_fma_f32 v[4:5], v[26:27], v[4:5], v[30:31] neg_lo:[0,0,1] neg_hi:[0,0,1]
	v_pk_fma_f32 v[26:27], v[72:73], v[28:29], v[30:31]
	v_mov_b32_e32 v34, v9
	v_mov_b32_e32 v35, v6
	v_mov_b32_e32 v102, v105
	global_store_dwordx2 v[32:33], v[20:21], off
	v_mov_b32_e32 v30, v3
	v_mov_b32_e32 v31, v10
	;; [unrolled: 1-line block ×7, first 2 shown]
	v_pk_mul_f32 v[6:7], v[34:35], v[102:103]
	v_mul_f32_e32 v116, v2, v106
	v_mov_b32_e32 v67, v64
	v_mov_b32_e32 v28, v2
	;; [unrolled: 1-line block ×3, first 2 shown]
	v_pk_mul_f32 v[30:31], v[30:31], v[106:107]
	v_pk_fma_f32 v[8:9], v[26:27], v[8:9], v[6:7] neg_lo:[0,0,1] neg_hi:[0,0,1]
	v_pk_fma_f32 v[6:7], v[70:71], v[32:33], v[6:7]
	v_mov_b32_e32 v32, v10
	v_mov_b32_e32 v10, v11
	;; [unrolled: 1-line block ×4, first 2 shown]
	v_fmac_f32_e32 v116, v66, v3
	v_pk_fma_f32 v[2:3], v[66:67], v[2:3], v[30:31] neg_lo:[0,0,1] neg_hi:[0,0,1]
	v_pk_fma_f32 v[28:29], v[66:67], v[28:29], v[30:31]
	v_mov_b32_e32 v65, v69
	v_mov_b32_e32 v33, v1
	v_pk_mul_f32 v[0:1], v[10:11], v[96:97]
	v_mov_b32_e32 v5, v27
	v_mov_b32_e32 v3, v29
	v_pk_fma_f32 v[10:11], v[64:65], v[32:33], v[0:1] neg_lo:[0,0,1] neg_hi:[0,0,1]
	v_pk_fma_f32 v[0:1], v[64:65], v[32:33], v[0:1]
	v_pk_add_f32 v[30:31], v[2:3], v[4:5] neg_lo:[0,1] neg_hi:[0,1]
	v_mov_b32_e32 v9, v7
	v_mov_b32_e32 v11, v1
	;; [unrolled: 1-line block ×4, first 2 shown]
	v_pk_add_f32 v[32:33], v[10:11], v[8:9]
	v_mov_b32_e32 v6, v7
	v_mov_b32_e32 v7, v8
	v_pk_add_f32 v[8:9], v[116:117], v[114:115] neg_lo:[0,1] neg_hi:[0,1]
	v_mov_b32_e32 v0, v1
	v_mov_b32_e32 v1, v30
	;; [unrolled: 1-line block ×3, first 2 shown]
	v_pk_add_f32 v[6:7], v[0:1], v[6:7] neg_lo:[0,1] neg_hi:[0,1]
	v_pk_add_f32 v[0:1], v[8:9], v[0:1]
	v_mov_b32_e32 v92, v29
	v_mov_b32_e32 v118, v27
	v_add_f32_e32 v111, v116, v114
	v_add_f32_e32 v122, v93, v119
	v_add_u32_e32 v12, 0x126, v165
	v_pk_add_f32 v[2:3], v[2:3], v[4:5]
	v_mov_b32_e32 v7, v1
	v_pk_add_f32 v[0:1], v[92:93], v[118:119] neg_lo:[0,1] neg_hi:[0,1]
	v_add_u32_e32 v60, 0x80a, v60
	v_mul_hi_u32 v13, v12, s13
	v_add_f32_e32 v35, v33, v111
	v_mov_b32_e32 v123, v3
	v_mov_b32_e32 v110, v32
	v_add_f32_e32 v40, v122, v2
	v_mov_b32_e32 v41, v3
	v_mov_b32_e32 v34, v32
	;; [unrolled: 1-line block ×6, first 2 shown]
	v_lshl_add_u64 v[36:37], v[60:61], 3, v[120:121]
	v_mov_b32_e32 v51, v39
	v_lshrrev_b32_e32 v13, 8, v13
	v_pk_add_f32 v[4:5], v[122:123], v[110:111] neg_lo:[0,1] neg_hi:[0,1]
	v_pk_add_f32 v[34:35], v[40:41], v[34:35]
	v_pk_add_f32 v[10:11], v[10:11], v[26:27] neg_lo:[0,1] neg_hi:[0,1]
	v_pk_add_f32 v[42:43], v[0:1], v[8:9]
	global_store_dwordx2 v[36:37], v[50:51], off
	v_mul_u32_u24_e32 v14, 0x157, v13
	v_pk_mul_f32 v[4:5], v[4:5], s[8:9]
	v_pk_add_f32 v[36:37], v[32:33], v[2:3] neg_lo:[0,1] neg_hi:[0,1]
	v_pk_add_f32 v[40:41], v[62:63], v[34:35]
	v_pk_mul_f32 v[10:11], v[10:11], s[4:5]
	v_pk_add_f32 v[26:27], v[0:1], v[8:9] neg_lo:[0,1] neg_hi:[0,1]
	v_mov_b32_e32 v43, v1
	v_sub_u32_e32 v12, v12, v14
	v_pk_mul_f32 v[38:39], v[36:37], s[14:15]
	v_pk_fma_f32 v[36:37], v[36:37], s[14:15], v[4:5]
	v_pk_fma_f32 v[34:35], v[34:35], s[10:11], v[40:41] op_sel_hi:[1,0,1] neg_lo:[1,0,0] neg_hi:[1,0,0]
	v_pk_mul_f32 v[28:29], v[26:27], s[6:7]
	v_pk_fma_f32 v[26:27], v[26:27], s[6:7], v[10:11]
	v_pk_add_f32 v[42:43], v[42:43], v[6:7]
	v_mad_u32_u24 v60, v13, s1, v12
	v_pk_add_f32 v[36:37], v[36:37], v[34:35]
	v_pk_fma_f32 v[26:27], v[42:43], s[0:1], v[26:27] op_sel_hi:[1,0,1]
	v_lshl_add_u64 v[12:13], v[60:61], 3, v[120:121]
	v_add_u32_e32 v14, 0x157, v60
	v_mov_b32_e32 v15, v61
	v_pk_add_f32 v[44:45], v[36:37], v[26:27] neg_lo:[0,1] neg_hi:[0,1]
	v_pk_add_f32 v[26:27], v[36:37], v[26:27]
	v_lshl_add_u64 v[14:15], v[14:15], 3, v[120:121]
	global_store_dwordx2 v[12:13], v[40:41], off
	v_mov_b32_e32 v12, v26
	v_mov_b32_e32 v13, v45
	;; [unrolled: 1-line block ×6, first 2 shown]
	global_store_dwordx2 v[14:15], v[12:13], off
	v_mov_b32_e32 v12, v4
	v_mov_b32_e32 v13, v39
	v_pk_add_f32 v[2:3], v[2:3], v[122:123] neg_lo:[0,1] neg_hi:[0,1]
	v_pk_add_f32 v[0:1], v[8:9], v[6:7] neg_lo:[0,1] neg_hi:[0,1]
	v_mov_b32_e32 v6, v10
	v_mov_b32_e32 v7, v29
	;; [unrolled: 1-line block ×4, first 2 shown]
	v_pk_fma_f32 v[12:13], v[2:3], s[12:13], v[12:13] op_sel_hi:[1,0,1] neg_lo:[1,0,1] neg_hi:[1,0,1]
	v_pk_fma_f32 v[6:7], v[0:1], s[2:3], v[6:7] op_sel_hi:[1,0,1] neg_lo:[1,0,1] neg_hi:[1,0,1]
	;; [unrolled: 1-line block ×4, first 2 shown]
	v_pk_add_f32 v[12:13], v[12:13], v[34:35]
	v_pk_fma_f32 v[6:7], v[42:43], s[0:1], v[6:7] op_sel_hi:[1,0,1]
	v_pk_fma_f32 v[0:1], v[42:43], s[0:1], v[0:1] op_sel_hi:[1,0,1]
	v_pk_add_f32 v[2:3], v[2:3], v[34:35]
	v_add_u32_e32 v16, 0x2ae, v60
	v_mov_b32_e32 v17, v61
	v_add_u32_e32 v18, 0x405, v60
	v_mov_b32_e32 v19, v61
	;; [unrolled: 2-line block ×4, first 2 shown]
	v_add_u32_e32 v60, 0x80a, v60
	v_pk_add_f32 v[8:9], v[12:13], v[6:7] neg_lo:[0,1] neg_hi:[0,1]
	v_pk_add_f32 v[6:7], v[12:13], v[6:7]
	v_pk_add_f32 v[4:5], v[2:3], v[0:1]
	v_pk_add_f32 v[0:1], v[2:3], v[0:1] neg_lo:[0,1] neg_hi:[0,1]
	v_lshl_add_u64 v[16:17], v[16:17], 3, v[120:121]
	v_lshl_add_u64 v[18:19], v[18:19], 3, v[120:121]
	;; [unrolled: 1-line block ×5, first 2 shown]
	v_mov_b32_e32 v12, v6
	v_mov_b32_e32 v13, v9
	v_mov_b32_e32 v2, v0
	v_mov_b32_e32 v3, v5
	v_mov_b32_e32 v5, v1
	v_mov_b32_e32 v9, v7
	v_mov_b32_e32 v45, v27
	global_store_dwordx2 v[16:17], v[12:13], off
	global_store_dwordx2 v[18:19], v[2:3], off
	;; [unrolled: 1-line block ×5, first 2 shown]
.LBB0_15:
	s_endpgm
	.section	.rodata,"a",@progbits
	.p2align	6, 0x0
	.amdhsa_kernel fft_rtc_fwd_len2401_factors_7_7_7_7_wgs_49_tpt_49_halfLds_sp_op_CI_CI_unitstride_sbrr_dirReg
		.amdhsa_group_segment_fixed_size 0
		.amdhsa_private_segment_fixed_size 0
		.amdhsa_kernarg_size 104
		.amdhsa_user_sgpr_count 2
		.amdhsa_user_sgpr_dispatch_ptr 0
		.amdhsa_user_sgpr_queue_ptr 0
		.amdhsa_user_sgpr_kernarg_segment_ptr 1
		.amdhsa_user_sgpr_dispatch_id 0
		.amdhsa_user_sgpr_kernarg_preload_length 0
		.amdhsa_user_sgpr_kernarg_preload_offset 0
		.amdhsa_user_sgpr_private_segment_size 0
		.amdhsa_uses_dynamic_stack 0
		.amdhsa_enable_private_segment 0
		.amdhsa_system_sgpr_workgroup_id_x 1
		.amdhsa_system_sgpr_workgroup_id_y 0
		.amdhsa_system_sgpr_workgroup_id_z 0
		.amdhsa_system_sgpr_workgroup_info 0
		.amdhsa_system_vgpr_workitem_id 0
		.amdhsa_next_free_vgpr 190
		.amdhsa_next_free_sgpr 28
		.amdhsa_accum_offset 192
		.amdhsa_reserve_vcc 1
		.amdhsa_float_round_mode_32 0
		.amdhsa_float_round_mode_16_64 0
		.amdhsa_float_denorm_mode_32 3
		.amdhsa_float_denorm_mode_16_64 3
		.amdhsa_dx10_clamp 1
		.amdhsa_ieee_mode 1
		.amdhsa_fp16_overflow 0
		.amdhsa_tg_split 0
		.amdhsa_exception_fp_ieee_invalid_op 0
		.amdhsa_exception_fp_denorm_src 0
		.amdhsa_exception_fp_ieee_div_zero 0
		.amdhsa_exception_fp_ieee_overflow 0
		.amdhsa_exception_fp_ieee_underflow 0
		.amdhsa_exception_fp_ieee_inexact 0
		.amdhsa_exception_int_div_zero 0
	.end_amdhsa_kernel
	.text
.Lfunc_end0:
	.size	fft_rtc_fwd_len2401_factors_7_7_7_7_wgs_49_tpt_49_halfLds_sp_op_CI_CI_unitstride_sbrr_dirReg, .Lfunc_end0-fft_rtc_fwd_len2401_factors_7_7_7_7_wgs_49_tpt_49_halfLds_sp_op_CI_CI_unitstride_sbrr_dirReg
                                        ; -- End function
	.section	.AMDGPU.csdata,"",@progbits
; Kernel info:
; codeLenInByte = 24796
; NumSgprs: 34
; NumVgprs: 190
; NumAgprs: 0
; TotalNumVgprs: 190
; ScratchSize: 0
; MemoryBound: 0
; FloatMode: 240
; IeeeMode: 1
; LDSByteSize: 0 bytes/workgroup (compile time only)
; SGPRBlocks: 4
; VGPRBlocks: 23
; NumSGPRsForWavesPerEU: 34
; NumVGPRsForWavesPerEU: 190
; AccumOffset: 192
; Occupancy: 2
; WaveLimiterHint : 1
; COMPUTE_PGM_RSRC2:SCRATCH_EN: 0
; COMPUTE_PGM_RSRC2:USER_SGPR: 2
; COMPUTE_PGM_RSRC2:TRAP_HANDLER: 0
; COMPUTE_PGM_RSRC2:TGID_X_EN: 1
; COMPUTE_PGM_RSRC2:TGID_Y_EN: 0
; COMPUTE_PGM_RSRC2:TGID_Z_EN: 0
; COMPUTE_PGM_RSRC2:TIDIG_COMP_CNT: 0
; COMPUTE_PGM_RSRC3_GFX90A:ACCUM_OFFSET: 47
; COMPUTE_PGM_RSRC3_GFX90A:TG_SPLIT: 0
	.text
	.p2alignl 6, 3212836864
	.fill 256, 4, 3212836864
	.type	__hip_cuid_af9b8615bd95c2e2,@object ; @__hip_cuid_af9b8615bd95c2e2
	.section	.bss,"aw",@nobits
	.globl	__hip_cuid_af9b8615bd95c2e2
__hip_cuid_af9b8615bd95c2e2:
	.byte	0                               ; 0x0
	.size	__hip_cuid_af9b8615bd95c2e2, 1

	.ident	"AMD clang version 19.0.0git (https://github.com/RadeonOpenCompute/llvm-project roc-6.4.0 25133 c7fe45cf4b819c5991fe208aaa96edf142730f1d)"
	.section	".note.GNU-stack","",@progbits
	.addrsig
	.addrsig_sym __hip_cuid_af9b8615bd95c2e2
	.amdgpu_metadata
---
amdhsa.kernels:
  - .agpr_count:     0
    .args:
      - .actual_access:  read_only
        .address_space:  global
        .offset:         0
        .size:           8
        .value_kind:     global_buffer
      - .offset:         8
        .size:           8
        .value_kind:     by_value
      - .actual_access:  read_only
        .address_space:  global
        .offset:         16
        .size:           8
        .value_kind:     global_buffer
      - .actual_access:  read_only
        .address_space:  global
        .offset:         24
        .size:           8
        .value_kind:     global_buffer
      - .actual_access:  read_only
        .address_space:  global
        .offset:         32
        .size:           8
        .value_kind:     global_buffer
      - .offset:         40
        .size:           8
        .value_kind:     by_value
      - .actual_access:  read_only
        .address_space:  global
        .offset:         48
        .size:           8
        .value_kind:     global_buffer
      - .actual_access:  read_only
        .address_space:  global
        .offset:         56
        .size:           8
        .value_kind:     global_buffer
      - .offset:         64
        .size:           4
        .value_kind:     by_value
      - .actual_access:  read_only
        .address_space:  global
        .offset:         72
        .size:           8
        .value_kind:     global_buffer
      - .actual_access:  read_only
        .address_space:  global
        .offset:         80
        .size:           8
        .value_kind:     global_buffer
      - .actual_access:  read_only
        .address_space:  global
        .offset:         88
        .size:           8
        .value_kind:     global_buffer
      - .actual_access:  write_only
        .address_space:  global
        .offset:         96
        .size:           8
        .value_kind:     global_buffer
    .group_segment_fixed_size: 0
    .kernarg_segment_align: 8
    .kernarg_segment_size: 104
    .language:       OpenCL C
    .language_version:
      - 2
      - 0
    .max_flat_workgroup_size: 49
    .name:           fft_rtc_fwd_len2401_factors_7_7_7_7_wgs_49_tpt_49_halfLds_sp_op_CI_CI_unitstride_sbrr_dirReg
    .private_segment_fixed_size: 0
    .sgpr_count:     34
    .sgpr_spill_count: 0
    .symbol:         fft_rtc_fwd_len2401_factors_7_7_7_7_wgs_49_tpt_49_halfLds_sp_op_CI_CI_unitstride_sbrr_dirReg.kd
    .uniform_work_group_size: 1
    .uses_dynamic_stack: false
    .vgpr_count:     190
    .vgpr_spill_count: 0
    .wavefront_size: 64
amdhsa.target:   amdgcn-amd-amdhsa--gfx950
amdhsa.version:
  - 1
  - 2
...

	.end_amdgpu_metadata
